;; amdgpu-corpus repo=ROCm/rocFFT kind=compiled arch=gfx906 opt=O3
	.text
	.amdgcn_target "amdgcn-amd-amdhsa--gfx906"
	.amdhsa_code_object_version 6
	.protected	fft_rtc_back_len952_factors_17_4_2_7_wgs_204_tpt_68_halfLds_half_op_CI_CI_sbrr_dirReg ; -- Begin function fft_rtc_back_len952_factors_17_4_2_7_wgs_204_tpt_68_halfLds_half_op_CI_CI_sbrr_dirReg
	.globl	fft_rtc_back_len952_factors_17_4_2_7_wgs_204_tpt_68_halfLds_half_op_CI_CI_sbrr_dirReg
	.p2align	8
	.type	fft_rtc_back_len952_factors_17_4_2_7_wgs_204_tpt_68_halfLds_half_op_CI_CI_sbrr_dirReg,@function
fft_rtc_back_len952_factors_17_4_2_7_wgs_204_tpt_68_halfLds_half_op_CI_CI_sbrr_dirReg: ; @fft_rtc_back_len952_factors_17_4_2_7_wgs_204_tpt_68_halfLds_half_op_CI_CI_sbrr_dirReg
; %bb.0:
	s_load_dwordx4 s[16:19], s[4:5], 0x18
	s_load_dwordx4 s[12:15], s[4:5], 0x0
	;; [unrolled: 1-line block ×3, first 2 shown]
	v_mul_u32_u24_e32 v1, 0x3c4, v0
	v_lshrrev_b32_e32 v1, 16, v1
	s_waitcnt lgkmcnt(0)
	s_load_dwordx2 s[22:23], s[16:17], 0x0
	s_load_dwordx2 s[20:21], s[18:19], 0x0
	v_mad_u64_u32 v[1:2], s[0:1], s6, 3, v[1:2]
	v_mov_b32_e32 v5, 0
	v_mov_b32_e32 v3, 0
	;; [unrolled: 1-line block ×3, first 2 shown]
	v_cmp_lt_u64_e64 s[0:1], s[14:15], 2
	v_mov_b32_e32 v4, 0
	v_mov_b32_e32 v17, v4
	;; [unrolled: 1-line block ×3, first 2 shown]
	s_and_b64 vcc, exec, s[0:1]
	v_mov_b32_e32 v16, v3
	v_mov_b32_e32 v20, v1
	s_cbranch_vccnz .LBB0_8
; %bb.1:
	s_load_dwordx2 s[0:1], s[4:5], 0x10
	s_add_u32 s2, s18, 8
	s_addc_u32 s3, s19, 0
	s_add_u32 s6, s16, 8
	v_mov_b32_e32 v3, 0
	s_addc_u32 s7, s17, 0
	v_mov_b32_e32 v4, 0
	s_waitcnt lgkmcnt(0)
	s_add_u32 s24, s0, 8
	v_mov_b32_e32 v17, v4
	v_mov_b32_e32 v8, v2
	s_addc_u32 s25, s1, 0
	s_mov_b64 s[26:27], 1
	v_mov_b32_e32 v16, v3
	v_mov_b32_e32 v7, v1
.LBB0_2:                                ; =>This Inner Loop Header: Depth=1
	s_load_dwordx2 s[28:29], s[24:25], 0x0
                                        ; implicit-def: $vgpr20_vgpr21
	s_waitcnt lgkmcnt(0)
	v_or_b32_e32 v6, s29, v8
	v_cmp_ne_u64_e32 vcc, 0, v[5:6]
	s_and_saveexec_b64 s[0:1], vcc
	s_xor_b64 s[30:31], exec, s[0:1]
	s_cbranch_execz .LBB0_4
; %bb.3:                                ;   in Loop: Header=BB0_2 Depth=1
	v_cvt_f32_u32_e32 v2, s28
	v_cvt_f32_u32_e32 v6, s29
	s_sub_u32 s0, 0, s28
	s_subb_u32 s1, 0, s29
	v_mac_f32_e32 v2, 0x4f800000, v6
	v_rcp_f32_e32 v2, v2
	v_mul_f32_e32 v2, 0x5f7ffffc, v2
	v_mul_f32_e32 v6, 0x2f800000, v2
	v_trunc_f32_e32 v6, v6
	v_mac_f32_e32 v2, 0xcf800000, v6
	v_cvt_u32_f32_e32 v6, v6
	v_cvt_u32_f32_e32 v2, v2
	v_mul_lo_u32 v9, s0, v6
	v_mul_hi_u32 v10, s0, v2
	v_mul_lo_u32 v12, s1, v2
	v_mul_lo_u32 v11, s0, v2
	v_add_u32_e32 v9, v10, v9
	v_add_u32_e32 v9, v9, v12
	v_mul_hi_u32 v10, v2, v11
	v_mul_lo_u32 v12, v2, v9
	v_mul_hi_u32 v14, v2, v9
	v_mul_hi_u32 v13, v6, v11
	v_mul_lo_u32 v11, v6, v11
	v_mul_hi_u32 v15, v6, v9
	v_add_co_u32_e32 v10, vcc, v10, v12
	v_addc_co_u32_e32 v12, vcc, 0, v14, vcc
	v_mul_lo_u32 v9, v6, v9
	v_add_co_u32_e32 v10, vcc, v10, v11
	v_addc_co_u32_e32 v10, vcc, v12, v13, vcc
	v_addc_co_u32_e32 v11, vcc, 0, v15, vcc
	v_add_co_u32_e32 v9, vcc, v10, v9
	v_addc_co_u32_e32 v10, vcc, 0, v11, vcc
	v_add_co_u32_e32 v2, vcc, v2, v9
	v_addc_co_u32_e32 v6, vcc, v6, v10, vcc
	v_mul_lo_u32 v9, s0, v6
	v_mul_hi_u32 v10, s0, v2
	v_mul_lo_u32 v11, s1, v2
	v_mul_lo_u32 v12, s0, v2
	v_add_u32_e32 v9, v10, v9
	v_add_u32_e32 v9, v9, v11
	v_mul_lo_u32 v13, v2, v9
	v_mul_hi_u32 v14, v2, v12
	v_mul_hi_u32 v15, v2, v9
	;; [unrolled: 1-line block ×3, first 2 shown]
	v_mul_lo_u32 v12, v6, v12
	v_mul_hi_u32 v10, v6, v9
	v_add_co_u32_e32 v13, vcc, v14, v13
	v_addc_co_u32_e32 v14, vcc, 0, v15, vcc
	v_mul_lo_u32 v9, v6, v9
	v_add_co_u32_e32 v12, vcc, v13, v12
	v_addc_co_u32_e32 v11, vcc, v14, v11, vcc
	v_addc_co_u32_e32 v10, vcc, 0, v10, vcc
	v_add_co_u32_e32 v9, vcc, v11, v9
	v_addc_co_u32_e32 v10, vcc, 0, v10, vcc
	v_add_co_u32_e32 v2, vcc, v2, v9
	v_addc_co_u32_e32 v6, vcc, v6, v10, vcc
	v_mad_u64_u32 v[9:10], s[0:1], v7, v6, 0
	v_mul_hi_u32 v11, v7, v2
	v_add_co_u32_e32 v13, vcc, v11, v9
	v_addc_co_u32_e32 v14, vcc, 0, v10, vcc
	v_mad_u64_u32 v[9:10], s[0:1], v8, v2, 0
	v_mad_u64_u32 v[11:12], s[0:1], v8, v6, 0
	v_add_co_u32_e32 v2, vcc, v13, v9
	v_addc_co_u32_e32 v2, vcc, v14, v10, vcc
	v_addc_co_u32_e32 v6, vcc, 0, v12, vcc
	v_add_co_u32_e32 v2, vcc, v2, v11
	v_addc_co_u32_e32 v6, vcc, 0, v6, vcc
	v_mul_lo_u32 v11, s29, v2
	v_mul_lo_u32 v12, s28, v6
	v_mad_u64_u32 v[9:10], s[0:1], s28, v2, 0
	v_add3_u32 v10, v10, v12, v11
	v_sub_u32_e32 v11, v8, v10
	v_mov_b32_e32 v12, s29
	v_sub_co_u32_e32 v9, vcc, v7, v9
	v_subb_co_u32_e64 v11, s[0:1], v11, v12, vcc
	v_subrev_co_u32_e64 v12, s[0:1], s28, v9
	v_subbrev_co_u32_e64 v11, s[0:1], 0, v11, s[0:1]
	v_cmp_le_u32_e64 s[0:1], s29, v11
	v_cndmask_b32_e64 v13, 0, -1, s[0:1]
	v_cmp_le_u32_e64 s[0:1], s28, v12
	v_cndmask_b32_e64 v12, 0, -1, s[0:1]
	v_cmp_eq_u32_e64 s[0:1], s29, v11
	v_cndmask_b32_e64 v11, v13, v12, s[0:1]
	v_add_co_u32_e64 v12, s[0:1], 2, v2
	v_addc_co_u32_e64 v13, s[0:1], 0, v6, s[0:1]
	v_add_co_u32_e64 v14, s[0:1], 1, v2
	v_addc_co_u32_e64 v15, s[0:1], 0, v6, s[0:1]
	v_subb_co_u32_e32 v10, vcc, v8, v10, vcc
	v_cmp_ne_u32_e64 s[0:1], 0, v11
	v_cmp_le_u32_e32 vcc, s29, v10
	v_cndmask_b32_e64 v11, v15, v13, s[0:1]
	v_cndmask_b32_e64 v13, 0, -1, vcc
	v_cmp_le_u32_e32 vcc, s28, v9
	v_cndmask_b32_e64 v9, 0, -1, vcc
	v_cmp_eq_u32_e32 vcc, s29, v10
	v_cndmask_b32_e32 v9, v13, v9, vcc
	v_cmp_ne_u32_e32 vcc, 0, v9
	v_cndmask_b32_e32 v21, v6, v11, vcc
	v_cndmask_b32_e64 v6, v14, v12, s[0:1]
	v_cndmask_b32_e32 v20, v2, v6, vcc
.LBB0_4:                                ;   in Loop: Header=BB0_2 Depth=1
	s_andn2_saveexec_b64 s[0:1], s[30:31]
	s_cbranch_execz .LBB0_6
; %bb.5:                                ;   in Loop: Header=BB0_2 Depth=1
	v_cvt_f32_u32_e32 v2, s28
	s_sub_i32 s30, 0, s28
	v_mov_b32_e32 v21, v5
	v_rcp_iflag_f32_e32 v2, v2
	v_mul_f32_e32 v2, 0x4f7ffffe, v2
	v_cvt_u32_f32_e32 v2, v2
	v_mul_lo_u32 v6, s30, v2
	v_mul_hi_u32 v6, v2, v6
	v_add_u32_e32 v2, v2, v6
	v_mul_hi_u32 v2, v7, v2
	v_mul_lo_u32 v6, v2, s28
	v_add_u32_e32 v9, 1, v2
	v_sub_u32_e32 v6, v7, v6
	v_subrev_u32_e32 v10, s28, v6
	v_cmp_le_u32_e32 vcc, s28, v6
	v_cndmask_b32_e32 v6, v6, v10, vcc
	v_cndmask_b32_e32 v2, v2, v9, vcc
	v_add_u32_e32 v9, 1, v2
	v_cmp_le_u32_e32 vcc, s28, v6
	v_cndmask_b32_e32 v20, v2, v9, vcc
.LBB0_6:                                ;   in Loop: Header=BB0_2 Depth=1
	s_or_b64 exec, exec, s[0:1]
	v_mul_lo_u32 v2, v21, s28
	v_mul_lo_u32 v6, v20, s29
	v_mad_u64_u32 v[9:10], s[0:1], v20, s28, 0
	s_load_dwordx2 s[0:1], s[6:7], 0x0
	s_load_dwordx2 s[28:29], s[2:3], 0x0
	v_add3_u32 v2, v10, v6, v2
	v_sub_co_u32_e32 v6, vcc, v7, v9
	v_subb_co_u32_e32 v2, vcc, v8, v2, vcc
	s_waitcnt lgkmcnt(0)
	v_mul_lo_u32 v7, s0, v2
	v_mul_lo_u32 v8, s1, v6
	v_mad_u64_u32 v[3:4], s[0:1], s0, v6, v[3:4]
	s_add_u32 s26, s26, 1
	s_addc_u32 s27, s27, 0
	s_add_u32 s2, s2, 8
	v_mul_lo_u32 v2, s28, v2
	v_mul_lo_u32 v9, s29, v6
	v_mad_u64_u32 v[16:17], s[0:1], s28, v6, v[16:17]
	v_add3_u32 v4, v8, v4, v7
	s_addc_u32 s3, s3, 0
	v_mov_b32_e32 v6, s14
	s_add_u32 s6, s6, 8
	v_mov_b32_e32 v7, s15
	s_addc_u32 s7, s7, 0
	v_cmp_ge_u64_e32 vcc, s[26:27], v[6:7]
	s_add_u32 s24, s24, 8
	v_add3_u32 v17, v9, v17, v2
	s_addc_u32 s25, s25, 0
	s_cbranch_vccnz .LBB0_8
; %bb.7:                                ;   in Loop: Header=BB0_2 Depth=1
	v_mov_b32_e32 v7, v20
	v_mov_b32_e32 v8, v21
	s_branch .LBB0_2
.LBB0_8:
	s_load_dwordx2 s[0:1], s[4:5], 0x28
	s_mov_b32 s4, 0x3c3c3c4
	v_mul_hi_u32 v2, v0, s4
	s_lshl_b64 s[2:3], s[14:15], 3
	s_add_u32 s4, s18, s2
	s_waitcnt lgkmcnt(0)
	v_cmp_gt_u64_e32 vcc, s[0:1], v[20:21]
	v_mul_u32_u24_e32 v2, 0x44, v2
	v_sub_u32_e32 v18, v0, v2
	v_cmp_gt_u32_e64 s[0:1], 56, v18
	s_addc_u32 s5, s19, s3
	s_and_b64 s[14:15], vcc, s[0:1]
	v_mov_b32_e32 v0, 0
	v_mov_b32_e32 v23, 0
                                        ; implicit-def: $vgpr11
                                        ; implicit-def: $vgpr2
                                        ; implicit-def: $vgpr12
                                        ; implicit-def: $vgpr5
                                        ; implicit-def: $vgpr13
                                        ; implicit-def: $vgpr6
                                        ; implicit-def: $vgpr14
                                        ; implicit-def: $vgpr7
                                        ; implicit-def: $vgpr15
                                        ; implicit-def: $vgpr8
                                        ; implicit-def: $vgpr26
                                        ; implicit-def: $vgpr9
                                        ; implicit-def: $vgpr27
                                        ; implicit-def: $vgpr10
                                        ; implicit-def: $vgpr28
                                        ; implicit-def: $vgpr38
                                        ; implicit-def: $vgpr29
                                        ; implicit-def: $vgpr40
                                        ; implicit-def: $vgpr30
                                        ; implicit-def: $vgpr42
                                        ; implicit-def: $vgpr31
                                        ; implicit-def: $vgpr43
                                        ; implicit-def: $vgpr32
                                        ; implicit-def: $vgpr44
                                        ; implicit-def: $vgpr33
                                        ; implicit-def: $vgpr45
                                        ; implicit-def: $vgpr34
                                        ; implicit-def: $vgpr46
                                        ; implicit-def: $vgpr35
                                        ; implicit-def: $vgpr47
                                        ; implicit-def: $vgpr36
                                        ; implicit-def: $vgpr48
	s_and_saveexec_b64 s[6:7], s[14:15]
	s_cbranch_execz .LBB0_10
; %bb.9:
	s_add_u32 s2, s16, s2
	s_addc_u32 s3, s17, s3
	s_load_dwordx2 s[2:3], s[2:3], 0x0
	v_mad_u64_u32 v[5:6], s[14:15], s22, v18, 0
	v_add_u32_e32 v15, 0x1f8, v18
	v_mov_b32_e32 v0, v6
	s_waitcnt lgkmcnt(0)
	v_mul_lo_u32 v2, s3, v20
	v_mul_lo_u32 v11, s2, v21
	v_mad_u64_u32 v[7:8], s[2:3], s2, v20, 0
	v_mad_u64_u32 v[9:10], s[2:3], s23, v18, v[0:1]
	v_add3_u32 v8, v8, v11, v2
	v_lshlrev_b64 v[7:8], 2, v[7:8]
	v_mov_b32_e32 v6, v9
	v_mov_b32_e32 v0, s9
	v_add_co_u32_e64 v9, s[2:3], s8, v7
	v_lshlrev_b64 v[2:3], 2, v[3:4]
	v_add_u32_e32 v4, 56, v18
	v_addc_co_u32_e64 v0, s[2:3], v0, v8, s[2:3]
	v_mad_u64_u32 v[7:8], s[2:3], s22, v4, 0
	v_add_co_u32_e64 v19, s[2:3], v9, v2
	v_addc_co_u32_e64 v22, s[2:3], v0, v3, s[2:3]
	v_mov_b32_e32 v0, v8
	v_lshlrev_b64 v[2:3], 2, v[5:6]
	v_mad_u64_u32 v[4:5], s[2:3], s23, v4, v[0:1]
	v_add_u32_e32 v9, 0x70, v18
	v_mad_u64_u32 v[5:6], s[2:3], s22, v9, 0
	v_add_co_u32_e64 v11, s[2:3], v19, v2
	v_mov_b32_e32 v8, v4
	v_mov_b32_e32 v0, v6
	v_addc_co_u32_e64 v12, s[2:3], v22, v3, s[2:3]
	v_lshlrev_b64 v[2:3], 2, v[7:8]
	v_mad_u64_u32 v[6:7], s[2:3], s23, v9, v[0:1]
	v_add_u32_e32 v4, 0xa8, v18
	v_mad_u64_u32 v[7:8], s[2:3], s22, v4, 0
	v_add_co_u32_e64 v13, s[2:3], v19, v2
	v_mov_b32_e32 v0, v8
	v_addc_co_u32_e64 v14, s[2:3], v22, v3, s[2:3]
	v_lshlrev_b64 v[2:3], 2, v[5:6]
	v_mad_u64_u32 v[4:5], s[2:3], s23, v4, v[0:1]
	v_add_u32_e32 v9, 0xe0, v18
	v_mad_u64_u32 v[5:6], s[2:3], s22, v9, 0
	v_add_co_u32_e64 v24, s[2:3], v19, v2
	v_mov_b32_e32 v8, v4
	v_mov_b32_e32 v0, v6
	v_addc_co_u32_e64 v25, s[2:3], v22, v3, s[2:3]
	v_lshlrev_b64 v[2:3], 2, v[7:8]
	v_mad_u64_u32 v[6:7], s[2:3], s23, v9, v[0:1]
	v_add_u32_e32 v4, 0x118, v18
	v_mad_u64_u32 v[7:8], s[2:3], s22, v4, 0
	v_add_co_u32_e64 v26, s[2:3], v19, v2
	v_mov_b32_e32 v0, v8
	v_addc_co_u32_e64 v27, s[2:3], v22, v3, s[2:3]
	;; [unrolled: 15-line block ×3, first 2 shown]
	v_lshlrev_b64 v[2:3], 2, v[5:6]
	v_mad_u64_u32 v[4:5], s[2:3], s23, v4, v[0:1]
	v_add_co_u32_e64 v32, s[2:3], v19, v2
	v_mov_b32_e32 v8, v4
	v_addc_co_u32_e64 v33, s[2:3], v22, v3, s[2:3]
	v_lshlrev_b64 v[2:3], 2, v[7:8]
	v_or_b32_e32 v4, 0x1c0, v18
	v_mad_u64_u32 v[34:35], s[2:3], s22, v4, 0
	v_add_co_u32_e64 v36, s[2:3], v19, v2
	v_addc_co_u32_e64 v37, s[2:3], v22, v3, s[2:3]
	v_mad_u64_u32 v[38:39], s[2:3], s22, v15, 0
	v_mov_b32_e32 v0, v35
	v_mad_u64_u32 v[3:4], s[2:3], s23, v4, v[0:1]
	v_mov_b32_e32 v0, v39
	global_load_dword v23, v[11:12], off
	global_load_dword v2, v[13:14], off
	;; [unrolled: 1-line block ×8, first 2 shown]
	v_mad_u64_u32 v[11:12], s[2:3], s23, v15, v[0:1]
	v_add_u32_e32 v24, 0x230, v18
	v_mad_u64_u32 v[12:13], s[2:3], s22, v24, 0
	v_mov_b32_e32 v35, v3
	v_lshlrev_b64 v[3:4], 2, v[34:35]
	v_mov_b32_e32 v0, v13
	v_add_co_u32_e64 v3, s[2:3], v19, v3
	v_addc_co_u32_e64 v4, s[2:3], v22, v4, s[2:3]
	v_mad_u64_u32 v[24:25], s[2:3], s23, v24, v[0:1]
	v_add_u32_e32 v27, 0x268, v18
	v_mad_u64_u32 v[25:26], s[2:3], s22, v27, 0
	v_mov_b32_e32 v39, v11
	v_lshlrev_b64 v[14:15], 2, v[38:39]
	v_mov_b32_e32 v13, v24
	v_add_co_u32_e64 v14, s[2:3], v19, v14
	v_mov_b32_e32 v0, v26
	v_addc_co_u32_e64 v15, s[2:3], v22, v15, s[2:3]
	v_lshlrev_b64 v[11:12], 2, v[12:13]
	v_mad_u64_u32 v[26:27], s[2:3], s23, v27, v[0:1]
	v_add_u32_e32 v13, 0x2a0, v18
	v_mad_u64_u32 v[27:28], s[2:3], s22, v13, 0
	v_add_co_u32_e64 v11, s[2:3], v19, v11
	v_mov_b32_e32 v0, v28
	v_addc_co_u32_e64 v12, s[2:3], v22, v12, s[2:3]
	v_mad_u64_u32 v[28:29], s[2:3], s23, v13, v[0:1]
	v_add_u32_e32 v13, 0x2d8, v18
	v_mad_u64_u32 v[29:30], s[2:3], s22, v13, 0
	v_lshlrev_b64 v[24:25], 2, v[25:26]
	v_lshlrev_b64 v[26:27], 2, v[27:28]
	v_add_co_u32_e64 v24, s[2:3], v19, v24
	v_mov_b32_e32 v0, v30
	v_addc_co_u32_e64 v25, s[2:3], v22, v25, s[2:3]
	v_mad_u64_u32 v[30:31], s[2:3], s23, v13, v[0:1]
	v_add_u32_e32 v13, 0x310, v18
	v_mad_u64_u32 v[31:32], s[2:3], s22, v13, 0
	v_add_co_u32_e64 v26, s[2:3], v19, v26
	v_mov_b32_e32 v0, v32
	v_addc_co_u32_e64 v27, s[2:3], v22, v27, s[2:3]
	v_mad_u64_u32 v[32:33], s[2:3], s23, v13, v[0:1]
	v_add_u32_e32 v13, 0x348, v18
	v_mad_u64_u32 v[33:34], s[2:3], s22, v13, 0
	v_lshlrev_b64 v[28:29], 2, v[29:30]
	v_lshlrev_b64 v[30:31], 2, v[31:32]
	v_add_co_u32_e64 v28, s[2:3], v19, v28
	v_mov_b32_e32 v0, v34
	v_addc_co_u32_e64 v29, s[2:3], v22, v29, s[2:3]
	v_mad_u64_u32 v[34:35], s[2:3], s23, v13, v[0:1]
	v_add_co_u32_e64 v30, s[2:3], v19, v30
	v_or_b32_e32 v13, 0x380, v18
	v_addc_co_u32_e64 v31, s[2:3], v22, v31, s[2:3]
	v_lshlrev_b64 v[32:33], 2, v[33:34]
	v_mad_u64_u32 v[34:35], s[2:3], s22, v13, 0
	v_add_co_u32_e64 v32, s[2:3], v19, v32
	v_mov_b32_e32 v0, v35
	v_addc_co_u32_e64 v33, s[2:3], v22, v33, s[2:3]
	v_mad_u64_u32 v[35:36], s[2:3], s23, v13, v[0:1]
	global_load_dword v38, v[3:4], off
	global_load_dword v40, v[14:15], off
	global_load_dword v42, v[11:12], off
	global_load_dword v43, v[24:25], off
	global_load_dword v44, v[26:27], off
	global_load_dword v45, v[28:29], off
	global_load_dword v46, v[30:31], off
	global_load_dword v47, v[32:33], off
	s_waitcnt vmcnt(15)
	v_lshrrev_b32_e32 v0, 16, v23
	v_lshlrev_b64 v[3:4], 2, v[34:35]
	s_waitcnt vmcnt(14)
	v_lshrrev_b32_e32 v11, 16, v2
	v_add_co_u32_e64 v3, s[2:3], v19, v3
	v_addc_co_u32_e64 v4, s[2:3], v22, v4, s[2:3]
	global_load_dword v48, v[3:4], off
	s_waitcnt vmcnt(14)
	v_lshrrev_b32_e32 v12, 16, v5
	s_waitcnt vmcnt(13)
	v_lshrrev_b32_e32 v13, 16, v6
	;; [unrolled: 2-line block ×15, first 2 shown]
.LBB0_10:
	s_or_b64 exec, exec, s[6:7]
	s_mov_b32 s2, 0xaaaaaaab
	v_mul_hi_u32 v3, v1, s2
	v_sub_f16_e32 v64, v11, v36
	s_mov_b32 s2, 0xb964bb29
	v_add_f16_e32 v56, v2, v48
	v_lshrrev_b32_e32 v3, 1, v3
	v_lshl_add_u32 v3, v3, 1, v3
	v_sub_f16_e32 v65, v12, v35
	s_mov_b32 s18, 0x39e93722
	v_pk_mul_f16 v58, v64, s2 op_sel_hi:[0,1]
	s_mov_b32 s2, 0xbbf7ba62
	v_add_f16_e32 v51, v5, v47
	v_sub_u32_e32 v22, v1, v3
	v_sub_f16_e32 v63, v13, v34
	v_pk_fma_f16 v3, v56, s18, v58 op_sel_hi:[0,1,1] neg_lo:[0,0,1] neg_hi:[0,0,1]
	s_mov_b32 s26, 0x2de8b8d2
	v_pk_mul_f16 v57, v65, s2 op_sel_hi:[0,1]
	s_mov_b32 s2, 0xba6231e1
	v_add_f16_e32 v1, v6, v46
	v_pk_add_f16 v3, v23, v3 op_sel_hi:[0,1]
	v_pk_fma_f16 v4, v51, s26, v57 op_sel_hi:[0,1,1] neg_lo:[0,0,1] neg_hi:[0,0,1]
	s_mov_b32 s27, 0xb8d2bbdd
	v_pk_mul_f16 v55, v63, s2 op_sel_hi:[0,1]
	s_mov_b32 s2, 0xb1e13bb2
	v_sub_f16_e32 v66, v14, v33
	v_pk_add_f16 v3, v4, v3
	v_pk_fma_f16 v4, v1, s27, v55 op_sel_hi:[0,1,1] neg_lo:[0,0,1] neg_hi:[0,0,1]
	s_mov_b32 s25, 0xbbddb461
	v_add_f16_e32 v37, v7, v45
	v_pk_mul_f16 v52, v66, s2 op_sel_hi:[0,1]
	v_pk_add_f16 v3, v4, v3
	v_pk_fma_f16 v4, v37, s25, v52 op_sel_hi:[0,1,1] neg_lo:[0,0,1] neg_hi:[0,0,1]
	s_mov_b32 s2, 0x38363964
	v_sub_f16_e32 v62, v15, v32
	v_pk_add_f16 v4, v4, v3
	s_mov_b32 s24, 0xbacd39e9
	v_add_f16_e32 v3, v8, v44
	v_pk_mul_f16 v39, v62, s2 op_sel_hi:[0,1]
	s_mov_b32 s2, 0x3bb2b5c8
	v_sub_f16_e32 v61, v26, v31
	v_pk_fma_f16 v19, v3, s24, v39 op_sel_hi:[0,1,1] neg_lo:[0,0,1] neg_hi:[0,0,1]
	s_mov_b32 s23, 0xb4613b76
	v_add_f16_e32 v49, v9, v43
	v_pk_mul_f16 v24, v61, s2 op_sel_hi:[0,1]
	s_mov_b32 s2, 0x3b29bbf7
	v_sub_f16_e32 v60, v27, v30
	v_pk_add_f16 v4, v19, v4
	v_pk_fma_f16 v19, v49, s23, v24 op_sel_hi:[0,1,1] neg_lo:[0,0,1] neg_hi:[0,0,1]
	s_mov_b32 s22, 0x37222de8
	v_add_f16_e32 v53, v10, v42
	v_pk_mul_f16 v41, v60, s2 op_sel_hi:[0,1]
	s_mov_b32 s2, 0x35c8b836
	v_sub_f16_e32 v59, v28, v29
	v_pk_add_f16 v4, v19, v4
	v_pk_fma_f16 v19, v53, s22, v41 op_sel_hi:[0,1,1] neg_lo:[0,0,1] neg_hi:[0,0,1]
	s_mov_b32 s19, 0x3b76bacd
	v_add_f16_e32 v54, v38, v40
	v_pk_mul_f16 v50, v59, s2 op_sel_hi:[0,1]
	s_mov_b32 s2, 0xbbf7bbb2
	v_pk_add_f16 v4, v19, v4
	v_pk_fma_f16 v19, v54, s19, v50 op_sel_hi:[0,1,1] neg_lo:[0,0,1] neg_hi:[0,0,1]
	s_mov_b32 s6, 0x2de8b461
	v_pk_mul_f16 v68, v64, s2 op_sel_hi:[0,1]
	s_mov_b32 s2, 0xb1e13836
	v_pk_add_f16 v19, v19, v4
	v_pk_fma_f16 v4, v56, s6, v68 op_sel_hi:[0,1,1] neg_lo:[0,0,1] neg_hi:[0,0,1]
	s_mov_b32 s8, 0xbbddbacd
	v_pk_mul_f16 v69, v65, s2 op_sel_hi:[0,1]
	s_mov_b32 s2, 0x3bb23964
	v_pk_add_f16 v4, v23, v4 op_sel_hi:[0,1]
	v_pk_fma_f16 v25, v51, s8, v69 op_sel_hi:[0,1,1] neg_lo:[0,0,1] neg_hi:[0,0,1]
	s_mov_b32 s7, 0xb46139e9
	v_pk_mul_f16 v70, v63, s2 op_sel_hi:[0,1]
	s_mov_b32 s2, 0x35c8bb29
	v_pk_add_f16 v4, v25, v4
	v_pk_fma_f16 v25, v1, s7, v70 op_sel_hi:[0,1,1] neg_lo:[0,0,1] neg_hi:[0,0,1]
	s_mov_b32 s14, 0x3b763722
	v_pk_mul_f16 v71, v66, s2 op_sel_hi:[0,1]
	s_mov_b32 s2, 0xbb29b1e1
	v_pk_add_f16 v4, v25, v4
	;; [unrolled: 5-line block ×4, first 2 shown]
	v_pk_fma_f16 v25, v49, s15, v73 op_sel_hi:[0,1,1] neg_lo:[0,0,1] neg_hi:[0,0,1]
	s_mov_b32 s16, 0xb8d23b76
	v_pk_mul_f16 v67, v60, s2 op_sel_hi:[0,1]
	v_pk_add_f16 v4, v25, v4
	v_pk_fma_f16 v25, v53, s16, v67 op_sel_hi:[0,1,1] neg_lo:[0,0,1] neg_hi:[0,0,1]
	s_mov_b32 s2, 0x3964ba62
	v_pk_add_f16 v25, v25, v4
	s_mov_b32 s17, 0x39e9b8d2
	v_pk_mul_f16 v4, v59, s2 op_sel_hi:[0,1]
	v_pk_fma_f16 v74, v54, s17, v4 op_sel_hi:[0,1,1] neg_lo:[0,0,1] neg_hi:[0,0,1]
	v_mul_u32_u24_e32 v22, 0x3b8, v22
	v_pk_add_f16 v25, v74, v25
	v_lshlrev_b32_e32 v22, 1, v22
	s_and_saveexec_b64 s[2:3], s[0:1]
	s_cbranch_execz .LBB0_12
; %bb.11:
	v_pk_mul_f16 v79, v51, s26 op_sel_hi:[0,1]
	v_mul_f16_e32 v83, 0xb8d2, v56
	s_movk_i32 s26, 0x3a62
	v_fma_f16 v84, v64, s26, v83
	v_mul_f16_e32 v85, 0xb461, v51
	s_mov_b32 s26, 0xbbb2
	v_add_f16_e32 v84, v23, v84
	v_fma_f16 v86, v65, s26, v85
	v_pk_mul_f16 v82, v1, s27 op_sel_hi:[0,1]
	v_add_f16_e32 v84, v86, v84
	v_mul_f16_e32 v86, 0x3b76, v1
	s_movk_i32 s26, 0x35c8
	s_mov_b32 s27, 0xba62
	v_fma_f16 v87, v63, s26, v86
	v_fma_f16 v83, v64, s27, v83
	s_movk_i32 s27, 0x3bb2
	v_add_f16_e32 v84, v87, v84
	v_mul_f16_e32 v87, 0xbacd, v37
	s_movk_i32 s26, 0x3836
	v_add_f16_e32 v83, v23, v83
	v_fma_f16 v85, v65, s27, v85
	s_mov_b32 s27, 0xb5c8
	v_fma_f16 v88, v66, s26, v87
	v_add_f16_e32 v83, v85, v83
	v_fma_f16 v86, v63, s27, v86
	v_add_f16_e32 v84, v88, v84
	v_mul_f16_e32 v88, 0x2de8, v3
	s_mov_b32 s26, 0xbbf7
	v_add_f16_e32 v83, v86, v83
	v_pk_mul_f16 v86, v37, s25 op_sel_hi:[0,1]
	s_mov_b32 s25, 0xb836
	v_fma_f16 v89, v62, s26, v88
	v_fma_f16 v87, v66, s25, v87
	s_movk_i32 s25, 0x3bf7
	v_add_f16_e32 v84, v89, v84
	v_mul_f16_e32 v89, 0x39e9, v49
	s_movk_i32 s26, 0x3964
	v_add_f16_e32 v83, v87, v83
	v_fma_f16 v88, v62, s25, v88
	s_mov_b32 s25, 0xb964
	v_fma_f16 v90, v61, s26, v89
	v_add_f16_e32 v83, v88, v83
	v_fma_f16 v89, v61, s25, v89
	v_add_f16_e32 v83, v89, v83
	v_pk_mul_f16 v89, v56, s6 op_sel_hi:[0,1]
	v_add_f16_e32 v68, v68, v89
	v_pk_mul_f16 v89, v51, s8 op_sel_hi:[0,1]
	v_add_f16_e32 v69, v69, v89
	v_add_f16_e32 v68, v23, v68
	;; [unrolled: 1-line block ×3, first 2 shown]
	v_pk_mul_f16 v69, v1, s7 op_sel_hi:[0,1]
	v_add_f16_e32 v69, v70, v69
	v_add_f16_e32 v68, v69, v68
	v_pk_mul_f16 v69, v37, s14 op_sel_hi:[0,1]
	v_add_f16_e32 v69, v71, v69
	v_add_f16_e32 v68, v69, v68
	;; [unrolled: 3-line block ×3, first 2 shown]
	v_pk_mul_f16 v69, v49, s15 op_sel_hi:[0,1]
	v_pack_b32_f16 v76, v64, v64
	v_add_f16_e32 v69, v73, v69
	s_movk_i32 s28, 0x3b76
	v_mul_f16_e32 v64, 0xb5c8, v64
	v_pk_mul_f16 v75, v56, s18 op_sel_hi:[0,1]
	s_mov_b32 s18, 0x5040100
	v_add_f16_e32 v84, v90, v84
	v_mul_f16_e32 v90, 0xbbdd, v53
	s_movk_i32 s26, 0x31e1
	v_add_f16_e32 v68, v69, v68
	v_fma_f16 v69, v56, s28, -v64
	v_perm_b32 v77, v23, v23, s18
	v_fma_f16 v91, v60, s26, v90
	v_add_f16_e32 v69, v23, v69
	v_add_f16_e32 v23, v23, v2
	;; [unrolled: 1-line block ×3, first 2 shown]
	s_movk_i32 s26, 0x3722
	v_mul_f16_e32 v91, 0x3b29, v59
	v_add_f16_e32 v23, v23, v5
	v_pack_b32_f16 v80, v65, v65
	v_fma_f16 v92, v54, s26, -v91
	v_pk_mul_f16 v70, v53, s16 op_sel_hi:[0,1]
	s_movk_i32 s31, 0x39e9
	v_mul_f16_e32 v65, 0xb964, v65
	v_add_f16_e32 v23, v23, v6
	v_add_f16_e32 v84, v92, v84
	v_pack_b32_f16 v92, v63, v63
	v_pk_add_f16 v67, v67, v70
	v_fma_f16 v70, v51, s31, -v65
	v_mul_f16_e32 v63, 0xbb29, v63
	v_add_f16_e32 v23, v23, v7
	v_pack_b32_f16 v87, v66, v66
	s_movk_i32 s30, 0x2de8
	v_add_f16_e32 v69, v70, v69
	v_fma_f16 v70, v1, s26, -v63
	v_mul_f16_e32 v66, 0xbbf7, v66
	v_add_f16_e32 v23, v23, v8
	v_add_f16_e32 v69, v70, v69
	v_fma_f16 v70, v37, s30, -v66
	v_add_f16_e32 v23, v23, v9
	s_mov_b32 s27, 0xb461
	v_add_f16_e32 v69, v70, v69
	v_mul_f16_e32 v70, 0xbbb2, v62
	v_add_f16_e32 v23, v23, v10
	v_fma_f16 v71, v3, s27, -v70
	v_add_f16_e32 v23, v23, v38
	s_mov_b32 s25, 0xb8d2
	v_add_f16_e32 v69, v71, v69
	v_mul_f16_e32 v71, 0xba62, v61
	;; [unrolled: 6-line block ×4, first 2 shown]
	v_add_f16_e32 v23, v23, v45
	v_fma_f16 v89, v54, s33, -v73
	v_add_f16_e32 v23, v23, v46
	v_add_f16_e32 v69, v89, v69
	;; [unrolled: 1-line block ×3, first 2 shown]
	v_mul_u32_u24_e32 v89, 34, v18
	v_add_f16_e32 v23, v23, v48
	v_add3_u32 v89, 0, v89, v22
	v_pack_b32_f16 v74, v56, v56
	ds_write_b16 v89, v23
	v_pk_mul_f16 v23, v3, s24 op_sel_hi:[0,1]
	s_mov_b32 s24, 0xffff
	v_mul_f16_e32 v56, 0x3b76, v56
	v_pack_b32_f16 v78, v51, v51
	v_bfi_b32 v58, s24, v64, v58
	v_bfi_b32 v56, s24, v56, v75
	v_mul_f16_e32 v51, 0x39e9, v51
	v_pack_b32_f16 v81, v1, v1
	v_pk_add_f16 v56, v58, v56
	v_bfi_b32 v57, s24, v65, v57
	v_bfi_b32 v51, s24, v51, v79
	v_mul_f16_e32 v1, 0x3722, v1
	v_pk_add_f16 v51, v57, v51
	v_pk_add_f16 v56, v77, v56
	v_bfi_b32 v55, s24, v63, v55
	v_bfi_b32 v1, s24, v1, v82
	v_pack_b32_f16 v85, v37, v37
	v_pk_add_f16 v51, v51, v56
	v_pk_add_f16 v1, v55, v1
	v_mul_f16_e32 v37, 0x2de8, v37
	v_pack_b32_f16 v88, v3, v3
	v_pk_add_f16 v1, v1, v51
	v_bfi_b32 v51, s24, v66, v52
	v_bfi_b32 v37, s24, v37, v86
	v_mul_f16_e32 v3, 0xb461, v3
	v_pk_mul_f16 v57, v54, s19 op_sel_hi:[0,1]
	s_mov_b32 s19, 0xb1e1b836
	v_pk_add_f16 v37, v51, v37
	v_bfi_b32 v39, s24, v70, v39
	v_bfi_b32 v3, s24, v3, v23
	v_pack_b32_f16 v64, v49, v49
	v_pk_mul_f16 v75, v49, s23 op_sel_hi:[0,1]
	v_pk_mul_f16 v63, v76, s19
	s_mov_b32 s19, 0x35c83b29
	v_pk_add_f16 v1, v37, v1
	v_mul_f16_e32 v49, 0xb8d2, v49
	v_pk_add_f16 v3, v39, v3
	v_pk_mul_f16 v82, v80, s19
	s_mov_b32 s19, 0xb836bbf7
	v_pk_add_f16 v1, v3, v1
	v_bfi_b32 v3, s24, v71, v24
	v_bfi_b32 v23, s24, v49, v75
	v_pk_mul_f16 v65, v53, s22 op_sel_hi:[0,1]
	v_pk_mul_f16 v55, v92, s19
	s_mov_b32 s19, 0x39643a62
	v_mul_f16_e32 v52, 0xbacd, v53
	v_pk_add_f16 v3, v3, v23
	v_pack_b32_f16 v62, v62, v62
	v_pk_mul_f16 v93, v87, s19
	s_mov_b32 s19, 0xba62b5c8
	v_pk_add_f16 v1, v3, v1
	v_bfi_b32 v3, s24, v72, v41
	v_bfi_b32 v23, s24, v52, v65
	v_pack_b32_f16 v61, v61, v61
	v_pack_b32_f16 v58, v53, v53
	s_mov_b32 s22, 0xb1e1
	v_pk_mul_f16 v66, v62, s19
	s_mov_b32 s19, 0x3b29b1e1
	v_mul_f16_e32 v53, 0xbbdd, v54
	v_pk_add_f16 v3, v3, v23
	v_fma_f16 v90, v60, s22, v90
	v_pack_b32_f16 v60, v60, v60
	v_pk_mul_f16 v86, v61, s19
	s_mov_b32 s19, 0xbbb23964
	v_pk_add_f16 v1, v3, v1
	v_bfi_b32 v3, s24, v73, v50
	v_bfi_b32 v23, s24, v53, v57
	v_pack_b32_f16 v59, v59, v59
	v_pk_mul_f16 v94, v60, s19
	s_mov_b32 s19, 0x3bf7bbb2
	v_pk_add_f16 v3, v3, v23
	s_mov_b32 s22, 0x2de83722
	v_pk_mul_f16 v37, v59, s19
	v_pk_add_f16 v49, v3, v1
	s_mov_b32 s19, 0xbbf7bb29
	v_pk_mul_f16 v1, v74, s22
	s_mov_b32 s22, 0xbbddb8d2
	v_pk_fma_f16 v1, v76, s19, v1
	s_mov_b32 s19, 0xb1e1ba62
	v_pk_mul_f16 v3, v78, s22
	v_pk_add_f16 v1, v77, v1
	v_pk_fma_f16 v3, v80, s19, v3
	s_mov_b32 s22, 0xb461bbdd
	v_pk_add_f16 v1, v3, v1
	s_mov_b32 s19, 0x3bb231e1
	v_pk_mul_f16 v3, v81, s22
	v_pk_fma_f16 v3, v92, s19, v3
	s_mov_b32 s22, 0x3b76b461
	v_pk_add_f16 v1, v3, v1
	s_mov_b32 s19, 0x35c83bb2
	v_pk_mul_f16 v3, v85, s22
	;; [unrolled: 5-line block ×5, first 2 shown]
	v_pack_b32_f16 v79, v54, v54
	v_pk_fma_f16 v3, v60, s19, v3
	s_mov_b32 s22, 0x39e9bacd
	v_pk_add_f16 v1, v3, v1
	s_mov_b32 s19, 0x3964b836
	v_pk_mul_f16 v3, v79, s22
	v_mul_f16_e32 v51, 0x3722, v54
	v_pk_fma_f16 v3, v59, s19, v3
	v_pk_mul_f16 v56, v54, s17 op_sel_hi:[0,1]
	v_pk_add_f16 v50, v3, v1
	v_pack_b32_f16 v1, v67, v91
	v_pack_b32_f16 v3, v68, v51
	v_pk_add_f16 v1, v1, v3
	v_perm_b32 v3, v90, v4, s18
	v_perm_b32 v4, v83, v56, s18
	v_pk_add_f16 v3, v3, v4
	v_pk_add_f16 v51, v1, v3
	v_pk_fma_f16 v1, v74, s8, v63
	v_pk_add_f16 v1, v77, v1
	v_pk_fma_f16 v3, v78, s14, v82
	;; [unrolled: 2-line block ×8, first 2 shown]
	v_pk_add_f16 v52, v3, v1
	v_pk_fma_f16 v1, v74, s8, v63 neg_lo:[0,0,1] neg_hi:[0,0,1]
	v_pk_add_f16 v1, v77, v1
	v_pk_fma_f16 v3, v78, s14, v82 neg_lo:[0,0,1] neg_hi:[0,0,1]
	;; [unrolled: 2-line block ×8, first 2 shown]
	v_pk_add_f16 v1, v3, v1
	ds_write_b128 v89, v[49:52] offset:2
	v_alignbit_b32 v49, v1, v1, 16
	v_perm_b32 v50, v25, v84, s18
	v_alignbit_b32 v52, v69, v19, 16
	v_alignbit_b32 v51, v19, v25, 16
	ds_write_b128 v89, v[49:52] offset:18
.LBB0_12:
	s_or_b64 exec, exec, s[2:3]
	v_lshlrev_b32_e32 v1, 1, v18
	v_add3_u32 v23, 0, v22, v1
	v_add_u32_e32 v1, 0, v1
	s_waitcnt lgkmcnt(0)
	s_barrier
	v_add_u32_e32 v24, v1, v22
	ds_read_u16 v50, v23
	ds_read_u16 v51, v24 offset:136
	ds_read_u16 v52, v24 offset:612
	;; [unrolled: 1-line block ×11, first 2 shown]
	v_cmp_gt_u32_e64 s[2:3], 34, v18
	s_and_saveexec_b64 s[6:7], s[2:3]
	s_cbranch_execz .LBB0_14
; %bb.13:
	ds_read_u16 v3, v24 offset:408
	ds_read_u16 v4, v24 offset:884
	;; [unrolled: 1-line block ×4, first 2 shown]
	s_mov_b32 s8, 0x5040100
	s_waitcnt lgkmcnt(2)
	v_perm_b32 v25, v4, v3, s8
	s_waitcnt lgkmcnt(0)
	v_perm_b32 v19, v58, v19, s8
.LBB0_14:
	s_or_b64 exec, exec, s[6:7]
	v_sub_f16_e32 v73, v2, v48
	s_mov_b32 s6, 0xb964bb29
	v_add_f16_e32 v72, v11, v36
	v_sub_f16_e32 v71, v5, v47
	v_sub_f16_e32 v65, v7, v45
	s_mov_b32 s8, 0x39e93722
	v_pk_mul_f16 v7, v73, s6 op_sel_hi:[0,1]
	s_mov_b32 s6, 0xbbf7ba62
	v_add_f16_e32 v70, v12, v35
	v_sub_f16_e32 v69, v6, v46
	v_sub_f16_e32 v61, v8, v44
	v_pk_fma_f16 v2, v72, s8, v7 op_sel_hi:[0,1,1]
	s_mov_b32 s9, 0x2de8b8d2
	v_pk_mul_f16 v8, v71, s6 op_sel_hi:[0,1]
	s_mov_b32 s6, 0xba6231e1
	v_add_f16_e32 v68, v13, v34
	v_sub_f16_e32 v42, v10, v42
	v_pk_add_f16 v2, v0, v2 op_sel_hi:[0,1]
	v_pk_fma_f16 v3, v70, s9, v8 op_sel_hi:[0,1,1]
	s_mov_b32 s14, 0xb8d2bbdd
	v_pk_mul_f16 v10, v69, s6 op_sel_hi:[0,1]
	s_mov_b32 s6, 0xb1e13bb2
	v_add_f16_e32 v64, v14, v33
	v_sub_f16_e32 v5, v38, v40
	v_pk_add_f16 v2, v3, v2
	v_pk_fma_f16 v3, v68, s14, v10 op_sel_hi:[0,1,1]
	s_mov_b32 s15, 0xbbddb461
	v_pk_mul_f16 v38, v65, s6 op_sel_hi:[0,1]
	s_mov_b32 s6, 0x38363964
	v_add_f16_e32 v59, v15, v32
	v_sub_f16_e32 v48, v9, v43
	v_pk_add_f16 v2, v3, v2
	v_pk_fma_f16 v3, v64, s15, v38 op_sel_hi:[0,1,1]
	s_mov_b32 s16, 0xbacd39e9
	v_pk_mul_f16 v40, v61, s6 op_sel_hi:[0,1]
	s_mov_b32 s6, 0x3bb2b5c8
	v_add_f16_e32 v46, v26, v31
	v_pk_add_f16 v2, v3, v2
	v_pk_fma_f16 v3, v59, s16, v40 op_sel_hi:[0,1,1]
	s_mov_b32 s17, 0xb4613b76
	v_pk_mul_f16 v43, v48, s6 op_sel_hi:[0,1]
	s_mov_b32 s6, 0x3b29bbf7
	v_add_f16_e32 v9, v27, v30
	;; [unrolled: 6-line block ×3, first 2 shown]
	v_pk_add_f16 v2, v3, v2
	v_pk_fma_f16 v3, v9, s18, v44 op_sel_hi:[0,1,1]
	s_mov_b32 s19, 0x3b76bacd
	v_pk_mul_f16 v45, v5, s6 op_sel_hi:[0,1]
	s_mov_b32 s6, 0xbbf7bbb2
	v_pk_add_f16 v2, v3, v2
	v_pk_fma_f16 v3, v4, s19, v45 op_sel_hi:[0,1,1]
	s_mov_b32 s22, 0x2de8b461
	v_pk_mul_f16 v47, v73, s6 op_sel_hi:[0,1]
	s_mov_b32 s6, 0xb1e13836
	;; [unrolled: 5-line block ×3, first 2 shown]
	v_pk_add_f16 v2, v0, v2 op_sel_hi:[0,1]
	v_pk_fma_f16 v6, v70, s23, v58 op_sel_hi:[0,1,1]
	s_mov_b32 s24, 0xb46139e9
	v_pk_mul_f16 v60, v69, s6 op_sel_hi:[0,1]
	s_mov_b32 s6, 0x35c8bb29
	v_pk_add_f16 v2, v6, v2
	v_pk_fma_f16 v6, v68, s24, v60 op_sel_hi:[0,1,1]
	s_mov_b32 s25, 0x3b763722
	v_pk_mul_f16 v62, v65, s6 op_sel_hi:[0,1]
	s_mov_b32 s6, 0xbb29b1e1
	v_pk_add_f16 v2, v6, v2
	v_pk_fma_f16 v6, v64, s25, v62 op_sel_hi:[0,1,1]
	s_mov_b32 s26, 0x3722bbdd
	v_pk_mul_f16 v63, v61, s6 op_sel_hi:[0,1]
	s_mov_b32 s6, 0xb8363bf7
	v_pk_add_f16 v2, v6, v2
	v_pk_fma_f16 v6, v59, s26, v63 op_sel_hi:[0,1,1]
	s_mov_b32 s27, 0xbacd2de8
	v_pk_mul_f16 v66, v48, s6 op_sel_hi:[0,1]
	s_mov_b32 s6, 0x3a62b5c8
	v_pk_add_f16 v2, v6, v2
	v_pk_fma_f16 v6, v46, s27, v66 op_sel_hi:[0,1,1]
	s_mov_b32 s28, 0xb8d23b76
	v_pk_mul_f16 v67, v42, s6 op_sel_hi:[0,1]
	v_pk_add_f16 v2, v6, v2
	v_pk_fma_f16 v6, v9, s28, v67 op_sel_hi:[0,1,1]
	s_mov_b32 s6, 0x3964ba62
	v_pk_add_f16 v2, v6, v2
	s_mov_b32 s29, 0x39e9b8d2
	v_pk_mul_f16 v6, v5, s6 op_sel_hi:[0,1]
	v_pk_fma_f16 v74, v4, s29, v6 op_sel_hi:[0,1,1]
	v_pk_add_f16 v2, v74, v2
	s_waitcnt lgkmcnt(0)
	s_barrier
	s_and_saveexec_b64 s[6:7], s[0:1]
	s_cbranch_execz .LBB0_16
; %bb.15:
	v_add_f16_e32 v11, v0, v11
	v_add_f16_e32 v11, v11, v12
	;; [unrolled: 1-line block ×10, first 2 shown]
	s_mov_b32 s0, 0x5040100
	v_add_f16_e32 v11, v11, v31
	v_perm_b32 v77, v0, v0, s0
	v_add_f16_e32 v11, v11, v32
	s_movk_i32 s0, 0x3b76
	v_mul_f16_e32 v13, 0xb5c8, v73
	v_pk_mul_f16 v75, v72, s8 op_sel_hi:[0,1]
	v_add_f16_e32 v11, v11, v33
	v_fma_f16 v14, v72, s0, v13
	s_mov_b32 s1, 0xbbdd
	v_mul_f16_e32 v26, 0xb1e1, v73
	s_movk_i32 s8, 0x39e9
	v_mul_f16_e32 v29, 0xb964, v71
	v_mul_f16_e32 v31, 0x35c8, v71
	v_add_f16_e32 v11, v11, v34
	v_add_f16_e32 v14, v0, v14
	v_fma_f16 v27, v72, s1, -v26
	v_fma_f16 v30, v70, s8, v29
	v_fma_f16 v32, v70, s0, -v31
	s_movk_i32 s0, 0x3722
	v_mul_f16_e32 v33, 0xbb29, v69
	v_pk_mul_f16 v79, v70, s9 op_sel_hi:[0,1]
	v_add_f16_e32 v11, v11, v35
	v_add_f16_e32 v27, v0, v27
	;; [unrolled: 1-line block ×3, first 2 shown]
	v_fma_f16 v34, v68, s0, v33
	s_mov_b32 s9, 0xbacd
	v_mul_f16_e32 v35, 0xb836, v69
	v_pack_b32_f16 v81, v68, v68
	v_pk_mul_f16 v82, v68, s14 op_sel_hi:[0,1]
	v_pk_mul_f16 v101, v68, s24 op_sel_hi:[0,1]
	v_add_f16_e32 v11, v11, v36
	v_add_f16_e32 v27, v32, v27
	v_mul_f16_e32 v32, 0x3722, v68
	v_add_f16_e32 v14, v34, v14
	v_mul_f16_e32 v34, 0xbacd, v68
	v_fma_f16 v36, v68, s9, -v35
	s_movk_i32 s14, 0x2de8
	v_mul_f16_e32 v68, 0xbbf7, v65
	v_pack_b32_f16 v83, v69, v69
	v_pack_b32_f16 v86, v65, v65
	v_fma_f16 v69, v64, s14, v68
	v_mul_f16_e32 v65, 0x3964, v65
	v_pack_b32_f16 v78, v70, v70
	v_pack_b32_f16 v84, v64, v64
	v_pk_mul_f16 v85, v64, s15 op_sel_hi:[0,1]
	v_pk_mul_f16 v100, v70, s23 op_sel_hi:[0,1]
	;; [unrolled: 1-line block ×3, first 2 shown]
	v_mul_f16_e32 v28, 0x39e9, v70
	v_mul_f16_e32 v30, 0x3b76, v70
	v_add_f16_e32 v27, v36, v27
	v_mul_f16_e32 v36, 0x2de8, v64
	v_add_f16_e32 v14, v69, v14
	v_mul_f16_e32 v69, 0x39e9, v64
	v_fma_f16 v64, v64, s8, -v65
	s_mov_b32 s8, 0xb461
	v_mul_f16_e32 v70, 0xbbb2, v61
	v_pack_b32_f16 v74, v72, v72
	v_pack_b32_f16 v80, v71, v71
	;; [unrolled: 1-line block ×3, first 2 shown]
	v_pk_mul_f16 v99, v72, s22 op_sel_hi:[0,1]
	v_mul_f16_e32 v12, 0x3b76, v72
	v_mul_f16_e32 v15, 0xbbdd, v72
	v_fma_f16 v71, v59, s8, v70
	s_mov_b32 s15, 0xb8d2
	v_mul_f16_e32 v61, 0xba62, v61
	v_mul_f16_e32 v72, 0xba62, v48
	v_pack_b32_f16 v76, v73, v73
	v_pack_b32_f16 v87, v59, v59
	v_pk_mul_f16 v88, v59, s16 op_sel_hi:[0,1]
	v_pack_b32_f16 v92, v48, v48
	v_pk_mul_f16 v103, v59, s26 op_sel_hi:[0,1]
	v_add_f16_e32 v27, v64, v27
	v_mul_f16_e32 v64, 0xb461, v59
	v_add_f16_e32 v14, v71, v14
	v_mul_f16_e32 v71, 0xb8d2, v59
	v_fma_f16 v59, v59, s15, -v61
	v_fma_f16 v73, v46, s15, v72
	v_mul_f16_e32 v48, 0x3b29, v48
	v_pack_b32_f16 v90, v46, v46
	v_pk_mul_f16 v91, v46, s17 op_sel_hi:[0,1]
	v_pk_mul_f16 v104, v46, s27 op_sel_hi:[0,1]
	v_add_f16_e32 v27, v59, v27
	v_mul_f16_e32 v59, 0xb8d2, v46
	v_add_f16_e32 v14, v73, v14
	v_mul_f16_e32 v73, 0x3722, v46
	v_fma_f16 v46, v46, s0, -v48
	s_mov_b32 s0, 0xffff
	v_bfi_b32 v12, s0, v12, v75
	v_bfi_b32 v7, s0, v13, v7
	v_pk_add_f16 v7, v12, v7 neg_lo:[0,1] neg_hi:[0,1]
	v_bfi_b32 v12, s0, v28, v79
	v_bfi_b32 v8, s0, v29, v8
	v_pk_add_f16 v7, v77, v7
	v_pk_add_f16 v8, v12, v8 neg_lo:[0,1] neg_hi:[0,1]
	v_pk_add_f16 v7, v8, v7
	v_bfi_b32 v8, s0, v32, v82
	v_bfi_b32 v10, s0, v33, v10
	v_pk_add_f16 v8, v8, v10 neg_lo:[0,1] neg_hi:[0,1]
	v_pk_add_f16 v7, v8, v7
	v_bfi_b32 v8, s0, v36, v85
	v_bfi_b32 v10, s0, v68, v38
	;; [unrolled: 4-line block ×3, first 2 shown]
	v_pk_add_f16 v8, v8, v10 neg_lo:[0,1] neg_hi:[0,1]
	v_mul_f16_e32 v107, 0xb836, v42
	v_pk_add_f16 v7, v8, v7
	v_bfi_b32 v8, s0, v59, v91
	v_bfi_b32 v10, s0, v72, v43
	v_pk_mul_f16 v94, v9, s18 op_sel_hi:[0,1]
	v_pack_b32_f16 v95, v42, v42
	v_add_f16_e32 v27, v46, v27
	v_mul_f16_e32 v46, 0xbacd, v9
	v_fma_f16 v108, v9, s9, v107
	v_mul_f16_e32 v42, 0xbbb2, v42
	v_pk_add_f16 v8, v8, v10 neg_lo:[0,1] neg_hi:[0,1]
	v_pack_b32_f16 v93, v9, v9
	v_pk_mul_f16 v105, v9, s28 op_sel_hi:[0,1]
	v_add_f16_e32 v14, v108, v14
	v_mul_f16_e32 v108, 0xb461, v9
	v_fma_f16 v9, v9, s8, -v42
	v_pk_add_f16 v7, v8, v7
	v_bfi_b32 v8, s0, v46, v94
	v_bfi_b32 v10, s0, v107, v44
	v_pk_mul_f16 v97, v4, s19 op_sel_hi:[0,1]
	v_add_f16_e32 v9, v9, v27
	v_mul_f16_e32 v27, 0xbbdd, v4
	v_mul_f16_e32 v109, 0xb1e1, v5
	v_pk_add_f16 v8, v8, v10 neg_lo:[0,1] neg_hi:[0,1]
	v_pk_add_f16 v7, v8, v7
	v_bfi_b32 v8, s0, v27, v97
	v_bfi_b32 v10, s0, v109, v45
	v_pk_add_f16 v8, v8, v10 neg_lo:[0,1] neg_hi:[0,1]
	v_pk_add_f16 v8, v8, v7
	v_sub_f16_e32 v7, v99, v47
	v_add_f16_e32 v7, v0, v7
	v_sub_f16_e32 v10, v100, v58
	v_add_f16_e32 v7, v10, v7
	;; [unrolled: 2-line block ×6, first 2 shown]
	v_sub_f16_e32 v10, v105, v67
	s_mov_b32 s8, 0x3bf73b29
	v_fma_f16 v110, v4, s1, v109
	v_add_f16_e32 v7, v10, v7
	s_mov_b32 s1, 0x2de83722
	v_pk_mul_f16 v10, v76, s8
	s_mov_b32 s8, 0x31e13a62
	v_pk_fma_f16 v10, v74, s1, v10
	s_mov_b32 s1, 0xbbddb8d2
	v_pk_mul_f16 v12, v80, s8
	v_pk_add_f16 v10, v77, v10
	v_pk_fma_f16 v12, v78, s1, v12
	s_mov_b32 s8, 0xbbb2b1e1
	v_pk_add_f16 v10, v12, v10
	s_mov_b32 s1, 0xb461bbdd
	v_pk_mul_f16 v12, v83, s8
	v_pk_fma_f16 v12, v81, s1, v12
	s_mov_b32 s8, 0xb5c8bbb2
	v_pk_add_f16 v10, v12, v10
	s_mov_b32 s1, 0x3b76b461
	v_pk_mul_f16 v12, v86, s8
	;; [unrolled: 5-line block ×5, first 2 shown]
	v_pack_b32_f16 v98, v5, v5
	v_pk_fma_f16 v12, v93, s1, v12
	s_mov_b32 s8, 0xb9643836
	v_pack_b32_f16 v96, v4, v4
	v_pk_add_f16 v10, v12, v10
	s_mov_b32 s1, 0x39e9bacd
	v_pk_mul_f16 v12, v98, s8
	v_pk_mul_f16 v106, v4, s29 op_sel_hi:[0,1]
	v_pk_fma_f16 v12, v96, s1, v12
	s_mov_b32 s1, 0xbacdb8d2
	s_mov_b32 s8, 0xb836ba62
	v_pk_add_f16 v10, v12, v10
	v_sub_f16_e32 v6, v106, v6
	v_pk_mul_f16 v12, v74, s1
	v_pk_mul_f16 v13, v76, s8
	v_add_f16_e32 v6, v6, v7
	v_add_f16_e32 v7, v12, v13
	;; [unrolled: 1-line block ×3, first 2 shown]
	v_pk_fma_f16 v7, v74, s1, v13 neg_lo:[0,0,1] neg_hi:[0,0,1]
	s_mov_b32 s1, 0x3722b461
	s_mov_b32 s8, 0x3b293bb2
	v_pk_mul_f16 v27, v78, s1
	v_pk_mul_f16 v28, v80, s8
	v_add_f16_e32 v29, v27, v28
	v_pk_add_f16 v7, v77, v7
	v_add_f16_e32 v0, v29, v0
	v_pk_fma_f16 v29, v78, s1, v28 neg_lo:[0,0,1] neg_hi:[0,0,1]
	s_mov_b32 s1, 0x2de83b76
	s_mov_b32 s8, 0xbbf7b5c8
	v_pk_add_f16 v7, v29, v7
	v_pk_mul_f16 v29, v81, s1
	v_pk_mul_f16 v32, v83, s8
	v_add_f16_e32 v33, v29, v32
	v_add_f16_e32 v0, v33, v0
	v_pk_fma_f16 v33, v81, s1, v32 neg_lo:[0,0,1] neg_hi:[0,0,1]
	s_mov_b32 s1, 0xb8d2bacd
	s_mov_b32 s8, 0x3a62b836
	v_pk_add_f16 v7, v33, v7
	v_pk_mul_f16 v33, v84, s1
	v_pk_mul_f16 v36, v86, s8
	v_add_f16_e32 v38, v33, v36
	;; [unrolled: 8-line block ×5, first 2 shown]
	s_mov_b32 s8, 0xbbb23b29
	v_add_f16_e32 v0, v47, v0
	v_pk_fma_f16 v47, v93, s1, v46 neg_lo:[0,0,1] neg_hi:[0,0,1]
	s_mov_b32 s1, 0xb4613722
	v_pk_mul_f16 v58, v98, s8
	v_pk_add_f16 v7, v47, v7
	v_pk_fma_f16 v59, v96, s1, v58 neg_lo:[0,0,1] neg_hi:[0,0,1]
	v_mul_f16_e32 v5, 0x3bf7, v5
	v_pk_add_f16 v7, v59, v7
	v_mul_f16_e32 v59, 0x2de8, v4
	v_fma_f16 v4, v4, s14, -v5
	v_add_f16_e32 v9, v4, v9
	v_bfi_b32 v4, s0, v15, v12
	v_bfi_b32 v12, s0, v26, v13
	v_pk_add_f16 v4, v4, v12
	v_bfi_b32 v12, s0, v30, v27
	v_bfi_b32 v13, s0, v31, v28
	v_pk_add_f16 v4, v77, v4
	v_pk_add_f16 v12, v12, v13
	;; [unrolled: 1-line block ×3, first 2 shown]
	v_bfi_b32 v12, s0, v34, v29
	v_bfi_b32 v13, s0, v35, v32
	v_pk_add_f16 v12, v12, v13
	v_pk_add_f16 v4, v12, v4
	v_bfi_b32 v12, s0, v69, v33
	v_bfi_b32 v13, s0, v65, v36
	v_pk_add_f16 v12, v12, v13
	v_pk_add_f16 v4, v12, v4
	;; [unrolled: 4-line block ×4, first 2 shown]
	v_bfi_b32 v12, s0, v108, v45
	v_bfi_b32 v13, s0, v42, v46
	v_pk_mul_f16 v47, v96, s1
	v_pk_add_f16 v12, v12, v13
	v_pk_add_f16 v4, v12, v4
	v_bfi_b32 v12, s0, v59, v47
	v_bfi_b32 v5, s0, v5, v58
	v_add_f16_e32 v60, v47, v58
	v_pk_add_f16 v5, v12, v5
	v_add_f16_e32 v0, v60, v0
	v_pk_add_f16 v12, v5, v4
	v_lshlrev_b32_e32 v4, 5, v18
	v_add3_u32 v13, v1, v4, v22
	v_alignbit_b32 v6, v6, v10, 16
	v_alignbit_b32 v5, v10, v8, 16
	v_pack_b32_f16 v4, v11, v8
	v_alignbit_b32 v1, v0, v12, 16
	v_pack_b32_f16 v0, v9, v12
	v_add_f16_e32 v14, v110, v14
	ds_write_b128 v13, v[4:7]
	ds_write_b128 v13, v[0:3] offset:16
	ds_write_b16 v13, v14 offset:32
.LBB0_16:
	s_or_b64 exec, exec, s[6:7]
	s_waitcnt lgkmcnt(0)
	s_barrier
	ds_read_u16 v29, v23
	ds_read_u16 v27, v24 offset:136
	ds_read_u16 v33, v24 offset:612
	ds_read_u16 v30, v24 offset:1088
	ds_read_u16 v31, v24 offset:952
	ds_read_u16 v34, v24 offset:748
	ds_read_u16 v38, v24 offset:476
	ds_read_u16 v28, v24 offset:272
	ds_read_u16 v36, v24 offset:1564
	ds_read_u16 v35, v24 offset:1700
	ds_read_u16 v40, v24 offset:1428
	ds_read_u16 v32, v24 offset:1224
	s_and_saveexec_b64 s[0:1], s[2:3]
	s_cbranch_execz .LBB0_18
; %bb.17:
	ds_read_u16 v0, v24 offset:408
	ds_read_u16 v1, v24 offset:884
	;; [unrolled: 1-line block ×4, first 2 shown]
	s_mov_b32 s6, 0x5040100
	s_waitcnt lgkmcnt(2)
	v_perm_b32 v2, v1, v0, s6
	s_waitcnt lgkmcnt(0)
	v_perm_b32 v3, v4, v3, s6
.LBB0_18:
	s_or_b64 exec, exec, s[0:1]
	s_movk_i32 s6, 0xf1
	v_add_u32_e32 v0, 0x44, v18
	v_mul_lo_u16_sdwa v4, v18, s6 dst_sel:DWORD dst_unused:UNUSED_PAD src0_sel:BYTE_0 src1_sel:DWORD
	v_lshrrev_b16_e32 v42, 12, v4
	v_mul_lo_u16_sdwa v6, v0, s6 dst_sel:DWORD dst_unused:UNUSED_PAD src0_sel:BYTE_0 src1_sel:DWORD
	v_mul_lo_u16_e32 v4, 17, v42
	v_lshrrev_b16_e32 v45, 12, v6
	v_sub_u16_e32 v43, v18, v4
	v_mov_b32_e32 v4, 3
	v_mul_lo_u16_e32 v6, 17, v45
	v_mul_u32_u24_sdwa v5, v43, v4 dst_sel:DWORD dst_unused:UNUSED_PAD src0_sel:BYTE_0 src1_sel:DWORD
	v_sub_u16_e32 v46, v0, v6
	v_add_u32_e32 v1, 0x88, v18
	v_lshlrev_b32_e32 v5, 2, v5
	v_mul_u32_u24_sdwa v6, v46, v4 dst_sel:DWORD dst_unused:UNUSED_PAD src0_sel:BYTE_0 src1_sel:DWORD
	v_lshlrev_b32_e32 v6, 2, v6
	global_load_dwordx3 v[10:12], v5, s[12:13]
	global_load_dwordx3 v[7:9], v6, s[12:13]
	v_mul_lo_u16_sdwa v5, v1, s6 dst_sel:DWORD dst_unused:UNUSED_PAD src0_sel:BYTE_0 src1_sel:DWORD
	v_lshrrev_b16_e32 v47, 12, v5
	v_mul_lo_u16_e32 v5, 17, v47
	v_add_u32_e32 v26, 0xcc, v18
	v_sub_u16_e32 v48, v1, v5
	s_mov_b32 s0, 0xf0f1
	v_mul_u32_u24_sdwa v4, v48, v4 dst_sel:DWORD dst_unused:UNUSED_PAD src0_sel:BYTE_0 src1_sel:DWORD
	v_mul_u32_u24_sdwa v5, v26, s0 dst_sel:DWORD dst_unused:UNUSED_PAD src0_sel:WORD_0 src1_sel:DWORD
	v_lshlrev_b32_e32 v4, 2, v4
	v_lshrrev_b32_e32 v5, 20, v5
	global_load_dwordx3 v[13:15], v4, s[12:13]
	v_mul_lo_u16_e32 v4, 17, v5
	v_sub_u16_e32 v58, v26, v4
	v_mul_u32_u24_e32 v4, 3, v58
	v_lshlrev_b32_e32 v4, 2, v4
	global_load_dwordx3 v[4:6], v4, s[12:13]
	v_lshrrev_b32_e32 v60, 16, v19
	v_lshrrev_b32_e32 v61, 16, v3
	;; [unrolled: 1-line block ×4, first 2 shown]
	s_movk_i32 s7, 0x88
	s_load_dwordx2 s[4:5], s[4:5], 0x0
	s_waitcnt vmcnt(0) lgkmcnt(0)
	s_barrier
	v_mul_f16_sdwa v65, v40, v12 dst_sel:DWORD dst_unused:UNUSED_PAD src0_sel:DWORD src1_sel:WORD_1
	v_mul_f16_sdwa v66, v57, v12 dst_sel:DWORD dst_unused:UNUSED_PAD src0_sel:DWORD src1_sel:WORD_1
	;; [unrolled: 1-line block ×9, first 2 shown]
	v_fma_f16 v57, v57, v12, v65
	v_fma_f16 v12, v40, v12, -v66
	v_fma_f16 v40, v52, v7, v67
	v_mul_f16_sdwa v73, v53, v13 dst_sel:DWORD dst_unused:UNUSED_PAD src0_sel:DWORD src1_sel:WORD_1
	v_mul_f16_sdwa v75, v35, v15 dst_sel:DWORD dst_unused:UNUSED_PAD src0_sel:DWORD src1_sel:WORD_1
	;; [unrolled: 1-line block ×3, first 2 shown]
	v_fma_f16 v52, v37, v8, v69
	v_fma_f16 v55, v55, v9, v70
	v_mul_f16_sdwa v79, v61, v6 dst_sel:DWORD dst_unused:UNUSED_PAD src0_sel:DWORD src1_sel:WORD_1
	v_mul_f16_sdwa v80, v60, v6 dst_sel:DWORD dst_unused:UNUSED_PAD src0_sel:DWORD src1_sel:WORD_1
	;; [unrolled: 1-line block ×4, first 2 shown]
	v_fma_f16 v56, v56, v10, v62
	v_fma_f16 v38, v38, v10, -v63
	v_fma_f16 v10, v33, v7, -v68
	;; [unrolled: 1-line block ×3, first 2 shown]
	v_fma_f16 v34, v54, v15, v75
	v_fma_f16 v15, v35, v15, -v76
	v_fma_f16 v35, v60, v6, v79
	v_fma_f16 v54, v61, v6, -v80
	v_sub_f16_e32 v52, v51, v52
	v_sub_f16_e32 v6, v40, v55
	v_mul_f16_sdwa v64, v31, v11 dst_sel:DWORD dst_unused:UNUSED_PAD src0_sel:DWORD src1_sel:WORD_1
	v_mul_f16_sdwa v77, v59, v4 dst_sel:DWORD dst_unused:UNUSED_PAD src0_sel:DWORD src1_sel:WORD_1
	;; [unrolled: 1-line block ×3, first 2 shown]
	v_fma_f16 v53, v53, v13, v72
	v_fma_f16 v13, v41, v14, v74
	v_fma_f16 v51, v51, 2.0, -v52
	v_fma_f16 v40, v40, 2.0, -v6
	v_fma_f16 v62, v39, v11, v64
	v_fma_f16 v44, v44, v4, v77
	v_fma_f16 v33, v59, v4, -v78
	v_sub_f16_e32 v4, v56, v57
	v_sub_f16_e32 v57, v51, v40
	;; [unrolled: 1-line block ×4, first 2 shown]
	v_fma_f16 v36, v36, v9, -v71
	v_sub_f16_e32 v59, v50, v62
	v_fma_f16 v49, v49, 2.0, -v40
	v_sub_f16_e32 v15, v7, v15
	v_fma_f16 v34, v53, 2.0, -v13
	v_sub_f16_e32 v9, v38, v12
	v_sub_f16_e32 v12, v10, v36
	v_fma_f16 v36, v50, 2.0, -v59
	v_fma_f16 v50, v56, 2.0, -v4
	v_sub_f16_e32 v53, v49, v34
	v_add_f16_e32 v60, v40, v15
	v_sub_f16_e32 v34, v44, v35
	v_sub_f16_e32 v35, v33, v54
	v_mov_b32_e32 v54, 1
	v_sub_f16_e32 v50, v36, v50
	v_fma_f16 v61, v40, 2.0, -v60
	v_mad_u32_u24 v40, v42, s7, 0
	v_lshlrev_b32_sdwa v42, v54, v43 dst_sel:DWORD dst_unused:UNUSED_PAD src0_sel:DWORD src1_sel:BYTE_0
	v_add_f16_e32 v55, v59, v9
	v_fma_f16 v36, v36, 2.0, -v50
	v_add3_u32 v40, v40, v42, v22
	v_fma_f16 v56, v59, 2.0, -v55
	ds_write_b16 v40, v36
	ds_write_b16 v40, v56 offset:34
	ds_write_b16 v40, v50 offset:68
	ds_write_b16 v40, v55 offset:102
	v_mad_u32_u24 v36, v45, s7, 0
	v_lshlrev_b32_sdwa v42, v54, v46 dst_sel:DWORD dst_unused:UNUSED_PAD src0_sel:DWORD src1_sel:BYTE_0
	v_add3_u32 v42, v36, v42, v22
	v_mad_u32_u24 v36, v47, s7, 0
	v_lshlrev_b32_sdwa v43, v54, v48 dst_sel:DWORD dst_unused:UNUSED_PAD src0_sel:DWORD src1_sel:BYTE_0
	v_fma_f16 v51, v51, 2.0, -v57
	v_add_f16_e32 v59, v52, v12
	v_fma_f16 v49, v49, 2.0, -v53
	v_add3_u32 v43, v36, v43, v22
	v_lshlrev_b32_e32 v36, 1, v58
	v_fma_f16 v52, v52, 2.0, -v59
	ds_write_b16 v42, v51
	ds_write_b16 v42, v52 offset:34
	ds_write_b16 v42, v57 offset:68
	;; [unrolled: 1-line block ×3, first 2 shown]
	ds_write_b16 v43, v49
	ds_write_b16 v43, v61 offset:34
	ds_write_b16 v43, v53 offset:68
	;; [unrolled: 1-line block ×3, first 2 shown]
	s_and_saveexec_b64 s[0:1], s[2:3]
	s_cbranch_execz .LBB0_20
; %bb.19:
	v_mul_f16_sdwa v45, v3, v5 dst_sel:DWORD dst_unused:UNUSED_PAD src0_sel:DWORD src1_sel:WORD_1
	v_fma_f16 v45, v19, v5, v45
	v_sub_f16_e32 v45, v25, v45
	v_add_f16_e32 v46, v45, v35
	v_fma_f16 v47, v45, 2.0, -v46
	v_fma_f16 v25, v25, 2.0, -v45
	v_mul_lo_u16_sdwa v45, v26, s6 dst_sel:DWORD dst_unused:UNUSED_PAD src0_sel:BYTE_0 src1_sel:DWORD
	v_fma_f16 v44, v44, 2.0, -v34
	v_lshrrev_b16_e32 v45, 12, v45
	v_sub_f16_e32 v44, v25, v44
	v_mad_u32_u24 v45, v45, s7, 0
	v_fma_f16 v25, v25, 2.0, -v44
	v_add3_u32 v45, v45, v36, v22
	ds_write_b16 v45, v25
	ds_write_b16 v45, v47 offset:34
	ds_write_b16 v45, v44 offset:68
	;; [unrolled: 1-line block ×3, first 2 shown]
.LBB0_20:
	s_or_b64 exec, exec, s[0:1]
	v_mul_f16_sdwa v25, v39, v11 dst_sel:DWORD dst_unused:UNUSED_PAD src0_sel:DWORD src1_sel:WORD_1
	v_fma_f16 v11, v31, v11, -v25
	v_mul_f16_sdwa v25, v37, v8 dst_sel:DWORD dst_unused:UNUSED_PAD src0_sel:DWORD src1_sel:WORD_1
	v_fma_f16 v8, v30, v8, -v25
	v_sub_f16_e32 v11, v29, v11
	v_mul_f16_sdwa v25, v41, v14 dst_sel:DWORD dst_unused:UNUSED_PAD src0_sel:DWORD src1_sel:WORD_1
	v_sub_f16_e32 v31, v11, v4
	v_sub_f16_e32 v4, v27, v8
	v_fma_f16 v14, v32, v14, -v25
	v_sub_f16_e32 v39, v4, v6
	v_fma_f16 v25, v29, 2.0, -v11
	v_fma_f16 v9, v38, 2.0, -v9
	v_fma_f16 v8, v27, 2.0, -v4
	v_fma_f16 v41, v4, 2.0, -v39
	v_sub_f16_e32 v4, v28, v14
	v_sub_f16_e32 v29, v25, v9
	v_fma_f16 v9, v10, 2.0, -v12
	v_fma_f16 v6, v28, 2.0, -v4
	;; [unrolled: 1-line block ×3, first 2 shown]
	v_sub_f16_e32 v37, v8, v9
	v_sub_f16_e32 v44, v6, v7
	;; [unrolled: 1-line block ×3, first 2 shown]
	v_fma_f16 v30, v25, 2.0, -v29
	v_fma_f16 v32, v11, 2.0, -v31
	;; [unrolled: 1-line block ×5, first 2 shown]
	s_waitcnt lgkmcnt(0)
	s_barrier
	ds_read_u16 v11, v23
	ds_read_u16 v10, v24 offset:136
	ds_read_u16 v9, v24 offset:272
	;; [unrolled: 1-line block ×13, first 2 shown]
	s_waitcnt lgkmcnt(0)
	s_barrier
	ds_write_b16 v40, v30
	ds_write_b16 v40, v32 offset:34
	ds_write_b16 v40, v29 offset:68
	ds_write_b16 v40, v31 offset:102
	ds_write_b16 v42, v38
	ds_write_b16 v42, v41 offset:34
	ds_write_b16 v42, v37 offset:68
	ds_write_b16 v42, v39 offset:102
	ds_write_b16 v43, v45
	ds_write_b16 v43, v47 offset:34
	ds_write_b16 v43, v44 offset:68
	ds_write_b16 v43, v46 offset:102
	s_and_saveexec_b64 s[0:1], s[2:3]
	s_cbranch_execz .LBB0_22
; %bb.21:
	v_mul_f16_sdwa v19, v19, v5 dst_sel:DWORD dst_unused:UNUSED_PAD src0_sel:DWORD src1_sel:WORD_1
	v_fma_f16 v3, v3, v5, -v19
	s_movk_i32 s2, 0xf1
	v_sub_f16_e32 v3, v2, v3
	v_mul_lo_u16_sdwa v29, v26, s2 dst_sel:DWORD dst_unused:UNUSED_PAD src0_sel:BYTE_0 src1_sel:DWORD
	v_fma_f16 v2, v2, 2.0, -v3
	v_fma_f16 v5, v33, 2.0, -v35
	v_lshrrev_b16_e32 v29, 12, v29
	s_movk_i32 s2, 0x88
	v_sub_f16_e32 v5, v2, v5
	v_mad_u32_u24 v29, v29, s2, 0
	v_fma_f16 v2, v2, 2.0, -v5
	v_sub_f16_e32 v19, v3, v34
	v_add3_u32 v29, v29, v36, v22
	v_fma_f16 v3, v3, 2.0, -v19
	ds_write_b16 v29, v2
	ds_write_b16 v29, v3 offset:34
	ds_write_b16 v29, v5 offset:68
	;; [unrolled: 1-line block ×3, first 2 shown]
.LBB0_22:
	s_or_b64 exec, exec, s[0:1]
	v_mov_b32_e32 v19, 0
	v_lshlrev_b64 v[29:30], 2, v[18:19]
	v_mov_b32_e32 v19, s13
	v_add_co_u32_e64 v29, s[0:1], s12, v29
	v_addc_co_u32_e64 v30, s[0:1], v19, v30, s[0:1]
	s_movk_i32 s0, 0x79
	v_mul_lo_u16_sdwa v19, v1, s0 dst_sel:DWORD dst_unused:UNUSED_PAD src0_sel:BYTE_0 src1_sel:DWORD
	v_lshrrev_b16_e32 v19, 13, v19
	s_mov_b32 s0, 0xf0f1
	v_add_u32_e32 v5, 0x154, v18
	v_add_u32_e32 v2, 0x198, v18
	s_waitcnt lgkmcnt(0)
	s_barrier
	v_mul_lo_u16_e32 v19, 0x44, v19
	v_mul_u32_u24_sdwa v32, v26, s0 dst_sel:DWORD dst_unused:UNUSED_PAD src0_sel:WORD_0 src1_sel:DWORD
	global_load_dword v29, v[29:30], off offset:204
	v_add_u32_e32 v3, 0x110, v18
	v_sub_u16_e32 v19, v1, v19
	v_mov_b32_e32 v31, 2
	v_lshrrev_b32_e32 v32, 22, v32
	v_mul_u32_u24_sdwa v34, v5, s0 dst_sel:DWORD dst_unused:UNUSED_PAD src0_sel:WORD_0 src1_sel:DWORD
	v_mul_u32_u24_sdwa v35, v2, s0 dst_sel:DWORD dst_unused:UNUSED_PAD src0_sel:WORD_0 src1_sel:DWORD
	v_lshlrev_b32_sdwa v31, v31, v19 dst_sel:DWORD dst_unused:UNUSED_PAD src0_sel:DWORD src1_sel:BYTE_0
	v_mul_lo_u16_e32 v32, 0x44, v32
	v_mul_u32_u24_sdwa v33, v3, s0 dst_sel:DWORD dst_unused:UNUSED_PAD src0_sel:WORD_0 src1_sel:DWORD
	v_lshrrev_b32_e32 v34, 22, v34
	v_lshrrev_b32_e32 v35, 22, v35
	v_sub_u16_e32 v26, v26, v32
	v_lshrrev_b32_e32 v33, 22, v33
	v_mul_lo_u16_e32 v34, 0x44, v34
	global_load_dword v31, v31, s[12:13] offset:204
	v_mul_lo_u16_e32 v35, 0x44, v35
	v_lshlrev_b32_e32 v32, 2, v26
	global_load_dword v32, v32, s[12:13] offset:204
	v_mul_lo_u16_e32 v33, 0x44, v33
	v_sub_u16_e32 v5, v5, v34
	v_sub_u16_e32 v35, v2, v35
	v_sub_u16_e32 v33, v3, v33
	v_lshlrev_b32_e32 v34, 2, v5
	global_load_dword v34, v34, s[12:13] offset:204
	v_lshlrev_b32_e32 v36, 2, v35
	global_load_dword v36, v36, s[12:13] offset:204
	;; [unrolled: 2-line block ×3, first 2 shown]
	ds_read_u16 v37, v23
	ds_read_u16 v38, v24 offset:136
	ds_read_u16 v39, v24 offset:272
	;; [unrolled: 1-line block ×13, first 2 shown]
	s_waitcnt vmcnt(0) lgkmcnt(0)
	s_barrier
	v_lshlrev_b32_e32 v5, 1, v5
	v_mul_f16_sdwa v51, v43, v29 dst_sel:DWORD dst_unused:UNUSED_PAD src0_sel:DWORD src1_sel:WORD_1
	v_mul_f16_sdwa v53, v45, v29 dst_sel:DWORD dst_unused:UNUSED_PAD src0_sel:DWORD src1_sel:WORD_1
	;; [unrolled: 1-line block ×4, first 2 shown]
	v_fma_f16 v27, v27, v29, v51
	v_fma_f16 v28, v28, v29, v53
	v_sub_f16_e32 v27, v11, v27
	v_sub_f16_e32 v28, v10, v28
	v_fma_f16 v43, v43, v29, -v52
	v_fma_f16 v29, v45, v29, -v54
	v_fma_f16 v11, v11, 2.0, -v27
	v_fma_f16 v10, v10, 2.0, -v28
	ds_write_b16 v24, v11
	ds_write_b16 v24, v27 offset:136
	ds_write_b16 v24, v10 offset:272
	ds_write_b16 v24, v28 offset:408
	v_mov_b32_e32 v10, 1
	v_lshlrev_b32_sdwa v10, v10, v19 dst_sel:DWORD dst_unused:UNUSED_PAD src0_sel:DWORD src1_sel:BYTE_0
	v_mul_f16_sdwa v45, v46, v31 dst_sel:DWORD dst_unused:UNUSED_PAD src0_sel:DWORD src1_sel:WORD_1
	v_mul_f16_sdwa v51, v25, v31 dst_sel:DWORD dst_unused:UNUSED_PAD src0_sel:DWORD src1_sel:WORD_1
	v_fma_f16 v25, v25, v31, v45
	v_mul_f16_sdwa v52, v47, v32 dst_sel:DWORD dst_unused:UNUSED_PAD src0_sel:DWORD src1_sel:WORD_1
	v_sub_f16_e32 v25, v9, v25
	v_mul_f16_sdwa v53, v15, v32 dst_sel:DWORD dst_unused:UNUSED_PAD src0_sel:DWORD src1_sel:WORD_1
	v_fma_f16 v15, v15, v32, v52
	v_fma_f16 v9, v9, 2.0, -v25
	v_add3_u32 v27, 0, v10, v22
	v_mul_f16_sdwa v56, v49, v34 dst_sel:DWORD dst_unused:UNUSED_PAD src0_sel:DWORD src1_sel:WORD_1
	v_sub_f16_e32 v15, v8, v15
	v_mul_f16_sdwa v58, v50, v36 dst_sel:DWORD dst_unused:UNUSED_PAD src0_sel:DWORD src1_sel:WORD_1
	ds_write_b16 v27, v9 offset:544
	ds_write_b16 v27, v25 offset:680
	v_mul_f16_sdwa v54, v48, v30 dst_sel:DWORD dst_unused:UNUSED_PAD src0_sel:DWORD src1_sel:WORD_1
	v_lshlrev_b32_e32 v9, 1, v26
	v_mul_f16_sdwa v55, v14, v30 dst_sel:DWORD dst_unused:UNUSED_PAD src0_sel:DWORD src1_sel:WORD_1
	v_mul_f16_sdwa v57, v13, v34 dst_sel:DWORD dst_unused:UNUSED_PAD src0_sel:DWORD src1_sel:WORD_1
	v_mul_f16_sdwa v59, v12, v36 dst_sel:DWORD dst_unused:UNUSED_PAD src0_sel:DWORD src1_sel:WORD_1
	v_fma_f16 v14, v14, v30, v54
	v_fma_f16 v13, v13, v34, v56
	;; [unrolled: 1-line block ×3, first 2 shown]
	v_fma_f16 v8, v8, 2.0, -v15
	v_add3_u32 v25, 0, v9, v22
	v_sub_f16_e32 v14, v7, v14
	v_sub_f16_e32 v13, v6, v13
	;; [unrolled: 1-line block ×3, first 2 shown]
	ds_write_b16 v25, v8 offset:816
	ds_write_b16 v25, v15 offset:952
	v_lshlrev_b32_e32 v8, 1, v33
	v_add3_u32 v28, 0, v5, v22
	v_lshlrev_b32_e32 v5, 1, v35
	v_fma_f16 v7, v7, 2.0, -v14
	v_fma_f16 v6, v6, 2.0, -v13
	;; [unrolled: 1-line block ×3, first 2 shown]
	v_add3_u32 v26, 0, v8, v22
	v_add3_u32 v33, 0, v5, v22
	ds_write_b16 v26, v7 offset:1088
	ds_write_b16 v26, v14 offset:1224
	;; [unrolled: 1-line block ×6, first 2 shown]
	s_waitcnt lgkmcnt(0)
	s_barrier
	ds_read_u16 v4, v23
	ds_read_u16 v5, v24 offset:1088
	ds_read_u16 v13, v24 offset:952
	;; [unrolled: 1-line block ×13, first 2 shown]
	v_fma_f16 v31, v46, v31, -v51
	v_fma_f16 v32, v47, v32, -v53
	;; [unrolled: 1-line block ×5, first 2 shown]
	v_sub_f16_e32 v43, v37, v43
	v_fma_f16 v37, v37, 2.0, -v43
	v_sub_f16_e32 v29, v38, v29
	v_sub_f16_e32 v31, v39, v31
	;; [unrolled: 1-line block ×6, first 2 shown]
	v_fma_f16 v38, v38, 2.0, -v29
	v_fma_f16 v39, v39, 2.0, -v31
	;; [unrolled: 1-line block ×6, first 2 shown]
	s_waitcnt lgkmcnt(0)
	s_barrier
	ds_write_b16 v24, v37
	ds_write_b16 v24, v43 offset:136
	ds_write_b16 v24, v38 offset:272
	;; [unrolled: 1-line block ×13, first 2 shown]
	s_waitcnt lgkmcnt(0)
	s_barrier
	s_and_saveexec_b64 s[0:1], vcc
	s_cbranch_execz .LBB0_24
; %bb.23:
	v_mul_u32_u24_e32 v25, 6, v0
	v_lshlrev_b32_e32 v29, 2, v25
	global_load_dwordx4 v[25:28], v29, s[12:13] offset:476
	global_load_dwordx2 v[33:34], v29, s[12:13] offset:492
	v_mul_u32_u24_e32 v29, 6, v18
	v_lshlrev_b32_e32 v51, 2, v29
	ds_read_u16 v37, v24 offset:952
	ds_read_u16 v38, v24 offset:816
	;; [unrolled: 1-line block ×13, first 2 shown]
	ds_read_u16 v50, v23
	global_load_dwordx4 v[29:32], v51, s[12:13] offset:476
	global_load_dwordx2 v[23:24], v51, s[12:13] offset:492
	v_mul_lo_u32 v35, s5, v20
	v_mul_lo_u32 v36, s4, v21
	v_mad_u64_u32 v[20:21], s[0:1], s4, v20, 0
	s_mov_b32 s1, 0xb574
	s_mov_b32 s4, 0xbb00
	v_add3_u32 v21, v21, v36, v35
	s_movk_i32 s5, 0x3574
	s_mov_b32 s0, 0xb70e
	s_mov_b32 s3, 0xbcab
	;; [unrolled: 1-line block ×3, first 2 shown]
	s_movk_i32 s7, 0x39e0
	s_movk_i32 s2, 0x3a52
	s_waitcnt vmcnt(3)
	v_lshrrev_b32_e32 v35, 16, v25
	v_lshrrev_b32_e32 v36, 16, v26
	;; [unrolled: 1-line block ×4, first 2 shown]
	v_mul_f16_e32 v53, v14, v25
	s_waitcnt vmcnt(2)
	v_lshrrev_b32_e32 v54, 16, v33
	v_lshrrev_b32_e32 v55, 16, v34
	v_mul_f16_e32 v56, v19, v34
	v_mul_f16_e32 v57, v22, v28
	;; [unrolled: 1-line block ×5, first 2 shown]
	s_waitcnt lgkmcnt(9)
	v_fma_f16 v53, v41, v35, v53
	s_waitcnt lgkmcnt(7)
	v_fma_f16 v56, v43, v55, v56
	s_waitcnt lgkmcnt(3)
	v_fma_f16 v57, v47, v52, v57
	v_fma_f16 v58, v37, v51, v58
	v_fma_f16 v59, v39, v36, v59
	;; [unrolled: 1-line block ×3, first 2 shown]
	v_mul_f16_e32 v19, v19, v55
	v_mul_f16_e32 v14, v14, v35
	;; [unrolled: 1-line block ×6, first 2 shown]
	v_sub_f16_e32 v35, v53, v56
	v_sub_f16_e32 v36, v57, v58
	;; [unrolled: 1-line block ×3, first 2 shown]
	v_fma_f16 v19, v43, v34, -v19
	v_fma_f16 v14, v41, v25, -v14
	;; [unrolled: 1-line block ×6, first 2 shown]
	v_add_f16_e32 v25, v53, v56
	v_add_f16_e32 v27, v59, v60
	v_sub_f16_e32 v28, v35, v36
	v_sub_f16_e32 v33, v36, v51
	v_add_f16_e32 v34, v36, v51
	v_add_f16_e32 v36, v14, v19
	;; [unrolled: 1-line block ×4, first 2 shown]
	v_sub_f16_e32 v14, v14, v19
	v_sub_f16_e32 v13, v22, v13
	;; [unrolled: 1-line block ×3, first 2 shown]
	v_add_f16_e32 v26, v57, v58
	v_add_f16_e32 v52, v36, v39
	v_add_f16_e32 v56, v25, v27
	v_sub_f16_e32 v19, v14, v13
	v_sub_f16_e32 v15, v13, v12
	v_add_f16_e32 v13, v13, v12
	v_sub_f16_e32 v12, v12, v14
	v_sub_f16_e32 v41, v25, v26
	;; [unrolled: 1-line block ×3, first 2 shown]
	v_add_f16_e32 v34, v35, v34
	v_sub_f16_e32 v45, v36, v37
	v_sub_f16_e32 v47, v37, v39
	v_add_f16_e32 v37, v37, v52
	v_add_f16_e32 v26, v26, v56
	v_mul_f16_e32 v15, 0x3846, v15
	v_add_f16_e32 v13, v14, v13
	v_sub_f16_e32 v35, v51, v35
	v_mul_f16_e32 v14, 0xbb00, v12
	v_mul_f16_e32 v33, 0x3846, v33
	;; [unrolled: 1-line block ×6, first 2 shown]
	s_waitcnt lgkmcnt(1)
	v_add_f16_e32 v49, v49, v37
	v_add_f16_e32 v11, v11, v26
	v_fma_f16 v22, v19, s1, v15
	v_mul_f16_e32 v51, 0xbb00, v35
	v_sub_f16_e32 v36, v39, v36
	v_sub_f16_e32 v25, v27, v25
	v_fma_f16 v14, v19, s5, -v14
	v_fma_f16 v12, v12, s4, -v15
	v_fma_f16 v54, v28, s1, v33
	v_fma_f16 v37, v37, s3, v49
	;; [unrolled: 1-line block ×4, first 2 shown]
	v_fma_f16 v28, v28, s5, -v51
	v_fma_f16 v39, v36, s6, -v55
	;; [unrolled: 1-line block ×3, first 2 shown]
	v_fma_f16 v14, v13, s0, v14
	v_fma_f16 v36, v36, s7, -v47
	v_fma_f16 v33, v35, s4, -v33
	v_fma_f16 v12, v13, s0, v12
	v_fma_f16 v13, v25, s7, -v43
	v_fma_f16 v45, v45, s2, v47
	v_fma_f16 v41, v41, s2, v43
	;; [unrolled: 1-line block ×3, first 2 shown]
	v_add_f16_e32 v39, v39, v37
	v_add_f16_e32 v27, v27, v26
	;; [unrolled: 1-line block ×3, first 2 shown]
	v_fma_f16 v33, v34, s0, v33
	v_add_f16_e32 v13, v13, v26
	v_fma_f16 v52, v34, s0, v54
	v_add_f16_e32 v45, v45, v37
	v_add_f16_e32 v41, v41, v26
	;; [unrolled: 1-line block ×3, first 2 shown]
	v_sub_f16_e32 v19, v27, v14
	v_sub_f16_e32 v34, v36, v33
	v_add_f16_e32 v15, v12, v13
	v_add_f16_e32 v25, v33, v36
	v_sub_f16_e32 v12, v13, v12
	v_sub_f16_e32 v13, v39, v28
	v_add_f16_e32 v14, v14, v27
	s_waitcnt vmcnt(1)
	v_lshrrev_b32_e32 v27, 16, v29
	v_lshrrev_b32_e32 v28, 16, v30
	;; [unrolled: 1-line block ×4, first 2 shown]
	s_waitcnt vmcnt(0)
	v_lshrrev_b32_e32 v37, 16, v23
	v_lshrrev_b32_e32 v39, 16, v24
	v_add_f16_e32 v54, v52, v45
	v_sub_f16_e32 v56, v41, v22
	v_sub_f16_e32 v26, v45, v52
	v_add_f16_e32 v22, v22, v41
	v_mul_f16_e32 v36, v9, v29
	v_mul_f16_e32 v41, v10, v24
	;; [unrolled: 1-line block ×12, first 2 shown]
	v_fma_f16 v36, v42, v27, v36
	v_fma_f16 v41, v44, v39, v41
	;; [unrolled: 1-line block ×4, first 2 shown]
	v_fma_f16 v10, v44, v24, -v10
	v_fma_f16 v9, v42, v29, -v9
	;; [unrolled: 1-line block ×6, first 2 shown]
	v_fma_f16 v45, v48, v35, v45
	v_fma_f16 v47, v38, v33, v47
	v_add_f16_e32 v24, v9, v10
	v_add_f16_e32 v27, v5, v7
	v_add_f16_e32 v23, v6, v8
	v_add_f16_e32 v33, v36, v41
	v_add_f16_e32 v38, v55, v57
	v_sub_f16_e32 v9, v9, v10
	v_sub_f16_e32 v5, v5, v7
	v_sub_f16_e32 v6, v6, v8
	v_sub_f16_e32 v43, v36, v41
	v_sub_f16_e32 v52, v45, v47
	v_sub_f16_e32 v58, v55, v57
	v_add_f16_e32 v35, v45, v47
	v_add_f16_e32 v40, v33, v38
	v_sub_f16_e32 v7, v9, v5
	v_sub_f16_e32 v8, v5, v6
	v_add_f16_e32 v5, v5, v6
	v_sub_f16_e32 v6, v6, v9
	v_sub_f16_e32 v59, v52, v58
	v_sub_f16_e32 v29, v24, v27
	v_sub_f16_e32 v28, v27, v23
	v_sub_f16_e32 v36, v33, v35
	v_sub_f16_e32 v39, v35, v38
	v_add_f16_e32 v35, v35, v40
	v_mul_f16_e32 v8, 0x3846, v8
	v_add_f16_e32 v5, v9, v5
	v_sub_f16_e32 v41, v58, v43
	v_mul_f16_e32 v9, 0xbb00, v6
	v_sub_f16_e32 v53, v43, v52
	v_mul_f16_e32 v59, 0x3846, v59
	v_add_f16_e32 v52, v52, v58
	v_mul_f16_e32 v31, 0x3a52, v29
	v_mul_f16_e32 v28, 0x2b26, v28
	v_add_f16_e32 v30, v24, v23
	v_mul_f16_e32 v37, 0x3a52, v36
	v_mul_f16_e32 v39, 0x2b26, v39
	v_add_f16_e32 v40, v4, v35
	v_fma_f16 v10, v7, s1, v8
	v_mul_f16_e32 v42, 0xbb00, v41
	v_sub_f16_e32 v23, v23, v24
	v_sub_f16_e32 v33, v38, v33
	v_fma_f16 v7, v7, s5, -v9
	v_fma_f16 v6, v6, s4, -v8
	v_fma_f16 v60, v53, s1, v59
	v_add_f16_e32 v52, v43, v52
	v_fma_f16 v36, v36, s2, v39
	v_fma_f16 v4, v35, s3, v40
	;; [unrolled: 1-line block ×3, first 2 shown]
	v_fma_f16 v42, v53, s5, -v42
	v_fma_f16 v24, v23, s6, -v31
	v_fma_f16 v37, v33, s6, -v37
	v_fma_f16 v7, v5, s0, v7
	v_fma_f16 v9, v23, s7, -v28
	v_fma_f16 v23, v41, s4, -v59
	v_fma_f16 v6, v5, s0, v6
	v_fma_f16 v5, v33, s7, -v39
	v_fma_f16 v60, v52, s0, v60
	v_add_f16_e32 v35, v36, v4
	v_fma_f16 v42, v52, s0, v42
	v_add_f16_e32 v37, v37, v4
	;; [unrolled: 2-line block ×3, first 2 shown]
	v_mad_u64_u32 v[4:5], s[0:1], s20, v18, 0
	v_fma_f16 v29, v29, s2, v28
	v_add_f16_e32 v27, v27, v30
	v_add_f16_e32 v28, v6, v8
	v_sub_f16_e32 v33, v8, v6
	v_mad_u64_u32 v[5:6], s[0:1], s21, v18, v[5:6]
	s_waitcnt lgkmcnt(0)
	v_add_f16_e32 v30, v50, v27
	v_sub_f16_e32 v38, v37, v7
	v_add_f16_e32 v37, v7, v37
	v_lshlrev_b64 v[6:7], 2, v[20:21]
	v_fma_f16 v27, v27, s3, v30
	v_add_f16_e32 v9, v9, v27
	v_mov_b32_e32 v8, s11
	v_add_co_u32_e32 v20, vcc, s10, v6
	v_add_f16_e32 v29, v29, v27
	v_add_f16_e32 v24, v24, v27
	v_sub_f16_e32 v27, v9, v23
	v_add_f16_e32 v23, v23, v9
	v_addc_co_u32_e32 v21, vcc, v8, v7, vcc
	v_mad_u64_u32 v[8:9], s[0:1], s20, v1, 0
	v_lshlrev_b64 v[6:7], 2, v[16:17]
	v_lshlrev_b64 v[4:5], 2, v[4:5]
	v_add_co_u32_e32 v16, vcc, v20, v6
	v_mov_b32_e32 v6, v9
	v_addc_co_u32_e32 v17, vcc, v21, v7, vcc
	v_mad_u64_u32 v[6:7], s[0:1], s21, v1, v[6:7]
	v_add_co_u32_e32 v4, vcc, v16, v4
	v_mov_b32_e32 v9, v6
	v_mad_u64_u32 v[6:7], s[0:1], s20, v3, 0
	v_addc_co_u32_e32 v5, vcc, v17, v5, vcc
	v_pack_b32_f16 v1, v40, v30
	global_store_dword v[4:5], v1, off
	v_mov_b32_e32 v1, v7
	v_lshlrev_b64 v[4:5], 2, v[8:9]
	v_mad_u64_u32 v[7:8], s[0:1], s21, v3, v[1:2]
	v_mad_u64_u32 v[8:9], s[0:1], s20, v2, 0
	v_add_f16_e32 v32, v60, v29
	v_sub_f16_e32 v36, v35, v10
	v_sub_f16_e32 v29, v29, v60
	v_add_f16_e32 v10, v10, v35
	v_add_co_u32_e32 v4, vcc, v16, v4
	v_addc_co_u32_e32 v5, vcc, v17, v5, vcc
	v_pack_b32_f16 v10, v10, v29
	global_store_dword v[4:5], v10, off
	v_lshlrev_b64 v[3:4], 2, v[6:7]
	v_mov_b32_e32 v1, v9
	v_mad_u64_u32 v[1:2], s[0:1], s21, v2, v[1:2]
	v_add_f16_e32 v31, v42, v24
	v_sub_f16_e32 v24, v24, v42
	v_add_co_u32_e32 v2, vcc, v16, v3
	v_addc_co_u32_e32 v3, vcc, v17, v4, vcc
	v_pack_b32_f16 v4, v37, v24
	v_add_u32_e32 v5, 0x220, v18
	global_store_dword v[2:3], v4, off
	v_mad_u64_u32 v[3:4], s[0:1], s20, v5, 0
	v_mov_b32_e32 v9, v1
	v_lshlrev_b64 v[1:2], 2, v[8:9]
	v_mad_u64_u32 v[4:5], s[0:1], s21, v5, v[4:5]
	v_add_u32_e32 v8, 0x2a8, v18
	v_mad_u64_u32 v[5:6], s[0:1], s20, v8, 0
	v_add_co_u32_e32 v1, vcc, v16, v1
	v_addc_co_u32_e32 v2, vcc, v17, v2, vcc
	v_pack_b32_f16 v7, v33, v23
	global_store_dword v[1:2], v7, off
	v_lshlrev_b64 v[1:2], 2, v[3:4]
	v_mov_b32_e32 v3, v6
	v_mad_u64_u32 v[3:4], s[0:1], s21, v8, v[3:4]
	v_add_co_u32_e32 v1, vcc, v16, v1
	v_addc_co_u32_e32 v2, vcc, v17, v2, vcc
	v_pack_b32_f16 v4, v28, v27
	v_mov_b32_e32 v6, v3
	global_store_dword v[1:2], v4, off
	v_lshlrev_b64 v[1:2], 2, v[5:6]
	v_add_u32_e32 v5, 0x330, v18
	v_mad_u64_u32 v[3:4], s[0:1], s20, v5, 0
	s_mov_b32 s0, 0xf0f0f0f1
	v_mul_hi_u32 v6, v0, s0
	v_mad_u64_u32 v[4:5], s[0:1], s21, v5, v[4:5]
	s_movk_i32 s2, 0x330
	v_lshrrev_b32_e32 v5, 7, v6
	v_mad_u32_u24 v8, v5, s2, v0
	v_mad_u64_u32 v[5:6], s[0:1], s20, v8, 0
	v_add_co_u32_e32 v1, vcc, v16, v1
	v_addc_co_u32_e32 v2, vcc, v17, v2, vcc
	v_pack_b32_f16 v7, v38, v31
	global_store_dword v[1:2], v7, off
	v_mov_b32_e32 v2, v6
	v_lshlrev_b64 v[0:1], 2, v[3:4]
	v_mad_u64_u32 v[2:3], s[0:1], s21, v8, v[2:3]
	v_add_co_u32_e32 v0, vcc, v16, v0
	v_addc_co_u32_e32 v1, vcc, v17, v1, vcc
	v_pack_b32_f16 v3, v36, v32
	v_add_u32_e32 v4, 0x88, v8
	global_store_dword v[0:1], v3, off
	v_mov_b32_e32 v6, v2
	v_mad_u64_u32 v[2:3], s[0:1], s20, v4, 0
	v_add_u32_e32 v7, 0x110, v8
	v_lshlrev_b64 v[0:1], 2, v[5:6]
	v_mad_u64_u32 v[3:4], s[0:1], s21, v4, v[3:4]
	v_mad_u64_u32 v[4:5], s[0:1], s20, v7, 0
	v_add_co_u32_e32 v0, vcc, v16, v0
	v_addc_co_u32_e32 v1, vcc, v17, v1, vcc
	v_pack_b32_f16 v6, v11, v49
	global_store_dword v[0:1], v6, off
	v_lshlrev_b64 v[0:1], 2, v[2:3]
	v_mov_b32_e32 v2, v5
	v_mad_u64_u32 v[2:3], s[0:1], s21, v7, v[2:3]
	v_add_co_u32_e32 v0, vcc, v16, v0
	v_addc_co_u32_e32 v1, vcc, v17, v1, vcc
	v_pack_b32_f16 v3, v22, v26
	v_mov_b32_e32 v5, v2
	global_store_dword v[0:1], v3, off
	v_lshlrev_b64 v[0:1], 2, v[4:5]
	v_add_u32_e32 v4, 0x198, v8
	v_mad_u64_u32 v[2:3], s[0:1], s20, v4, 0
	v_add_u32_e32 v7, 0x220, v8
	v_add_co_u32_e32 v0, vcc, v16, v0
	v_mad_u64_u32 v[3:4], s[0:1], s21, v4, v[3:4]
	v_mad_u64_u32 v[4:5], s[0:1], s20, v7, 0
	v_addc_co_u32_e32 v1, vcc, v17, v1, vcc
	v_pack_b32_f16 v6, v14, v13
	global_store_dword v[0:1], v6, off
	v_lshlrev_b64 v[0:1], 2, v[2:3]
	v_mov_b32_e32 v2, v5
	v_mad_u64_u32 v[2:3], s[0:1], s21, v7, v[2:3]
	v_add_co_u32_e32 v0, vcc, v16, v0
	v_addc_co_u32_e32 v1, vcc, v17, v1, vcc
	v_pack_b32_f16 v3, v12, v25
	v_mov_b32_e32 v5, v2
	global_store_dword v[0:1], v3, off
	v_lshlrev_b64 v[0:1], 2, v[4:5]
	v_add_u32_e32 v4, 0x2a8, v8
	v_mad_u64_u32 v[2:3], s[0:1], s20, v4, 0
	v_add_u32_e32 v7, 0x330, v8
	v_add_co_u32_e32 v0, vcc, v16, v0
	v_mad_u64_u32 v[3:4], s[0:1], s21, v4, v[3:4]
	v_mad_u64_u32 v[4:5], s[0:1], s20, v7, 0
	v_addc_co_u32_e32 v1, vcc, v17, v1, vcc
	v_pack_b32_f16 v6, v15, v34
	global_store_dword v[0:1], v6, off
	v_lshlrev_b64 v[0:1], 2, v[2:3]
	v_mov_b32_e32 v2, v5
	v_mad_u64_u32 v[2:3], s[0:1], s21, v7, v[2:3]
	v_add_co_u32_e32 v0, vcc, v16, v0
	v_addc_co_u32_e32 v1, vcc, v17, v1, vcc
	v_pack_b32_f16 v3, v19, v51
	v_mov_b32_e32 v5, v2
	global_store_dword v[0:1], v3, off
	v_lshlrev_b64 v[0:1], 2, v[4:5]
	v_pack_b32_f16 v2, v56, v54
	v_add_co_u32_e32 v0, vcc, v16, v0
	v_addc_co_u32_e32 v1, vcc, v17, v1, vcc
	global_store_dword v[0:1], v2, off
.LBB0_24:
	s_endpgm
	.section	.rodata,"a",@progbits
	.p2align	6, 0x0
	.amdhsa_kernel fft_rtc_back_len952_factors_17_4_2_7_wgs_204_tpt_68_halfLds_half_op_CI_CI_sbrr_dirReg
		.amdhsa_group_segment_fixed_size 0
		.amdhsa_private_segment_fixed_size 0
		.amdhsa_kernarg_size 104
		.amdhsa_user_sgpr_count 6
		.amdhsa_user_sgpr_private_segment_buffer 1
		.amdhsa_user_sgpr_dispatch_ptr 0
		.amdhsa_user_sgpr_queue_ptr 0
		.amdhsa_user_sgpr_kernarg_segment_ptr 1
		.amdhsa_user_sgpr_dispatch_id 0
		.amdhsa_user_sgpr_flat_scratch_init 0
		.amdhsa_user_sgpr_private_segment_size 0
		.amdhsa_uses_dynamic_stack 0
		.amdhsa_system_sgpr_private_segment_wavefront_offset 0
		.amdhsa_system_sgpr_workgroup_id_x 1
		.amdhsa_system_sgpr_workgroup_id_y 0
		.amdhsa_system_sgpr_workgroup_id_z 0
		.amdhsa_system_sgpr_workgroup_info 0
		.amdhsa_system_vgpr_workitem_id 0
		.amdhsa_next_free_vgpr 111
		.amdhsa_next_free_sgpr 34
		.amdhsa_reserve_vcc 1
		.amdhsa_reserve_flat_scratch 0
		.amdhsa_float_round_mode_32 0
		.amdhsa_float_round_mode_16_64 0
		.amdhsa_float_denorm_mode_32 3
		.amdhsa_float_denorm_mode_16_64 3
		.amdhsa_dx10_clamp 1
		.amdhsa_ieee_mode 1
		.amdhsa_fp16_overflow 0
		.amdhsa_exception_fp_ieee_invalid_op 0
		.amdhsa_exception_fp_denorm_src 0
		.amdhsa_exception_fp_ieee_div_zero 0
		.amdhsa_exception_fp_ieee_overflow 0
		.amdhsa_exception_fp_ieee_underflow 0
		.amdhsa_exception_fp_ieee_inexact 0
		.amdhsa_exception_int_div_zero 0
	.end_amdhsa_kernel
	.text
.Lfunc_end0:
	.size	fft_rtc_back_len952_factors_17_4_2_7_wgs_204_tpt_68_halfLds_half_op_CI_CI_sbrr_dirReg, .Lfunc_end0-fft_rtc_back_len952_factors_17_4_2_7_wgs_204_tpt_68_halfLds_half_op_CI_CI_sbrr_dirReg
                                        ; -- End function
	.section	.AMDGPU.csdata,"",@progbits
; Kernel info:
; codeLenInByte = 13828
; NumSgprs: 38
; NumVgprs: 111
; ScratchSize: 0
; MemoryBound: 0
; FloatMode: 240
; IeeeMode: 1
; LDSByteSize: 0 bytes/workgroup (compile time only)
; SGPRBlocks: 4
; VGPRBlocks: 27
; NumSGPRsForWavesPerEU: 38
; NumVGPRsForWavesPerEU: 111
; Occupancy: 2
; WaveLimiterHint : 1
; COMPUTE_PGM_RSRC2:SCRATCH_EN: 0
; COMPUTE_PGM_RSRC2:USER_SGPR: 6
; COMPUTE_PGM_RSRC2:TRAP_HANDLER: 0
; COMPUTE_PGM_RSRC2:TGID_X_EN: 1
; COMPUTE_PGM_RSRC2:TGID_Y_EN: 0
; COMPUTE_PGM_RSRC2:TGID_Z_EN: 0
; COMPUTE_PGM_RSRC2:TIDIG_COMP_CNT: 0
	.type	__hip_cuid_3a2e37962da8fc04,@object ; @__hip_cuid_3a2e37962da8fc04
	.section	.bss,"aw",@nobits
	.globl	__hip_cuid_3a2e37962da8fc04
__hip_cuid_3a2e37962da8fc04:
	.byte	0                               ; 0x0
	.size	__hip_cuid_3a2e37962da8fc04, 1

	.ident	"AMD clang version 19.0.0git (https://github.com/RadeonOpenCompute/llvm-project roc-6.4.0 25133 c7fe45cf4b819c5991fe208aaa96edf142730f1d)"
	.section	".note.GNU-stack","",@progbits
	.addrsig
	.addrsig_sym __hip_cuid_3a2e37962da8fc04
	.amdgpu_metadata
---
amdhsa.kernels:
  - .args:
      - .actual_access:  read_only
        .address_space:  global
        .offset:         0
        .size:           8
        .value_kind:     global_buffer
      - .offset:         8
        .size:           8
        .value_kind:     by_value
      - .actual_access:  read_only
        .address_space:  global
        .offset:         16
        .size:           8
        .value_kind:     global_buffer
      - .actual_access:  read_only
        .address_space:  global
        .offset:         24
        .size:           8
        .value_kind:     global_buffer
      - .actual_access:  read_only
        .address_space:  global
        .offset:         32
        .size:           8
        .value_kind:     global_buffer
      - .offset:         40
        .size:           8
        .value_kind:     by_value
      - .actual_access:  read_only
        .address_space:  global
        .offset:         48
        .size:           8
        .value_kind:     global_buffer
      - .actual_access:  read_only
        .address_space:  global
        .offset:         56
        .size:           8
        .value_kind:     global_buffer
      - .offset:         64
        .size:           4
        .value_kind:     by_value
      - .actual_access:  read_only
        .address_space:  global
        .offset:         72
        .size:           8
        .value_kind:     global_buffer
      - .actual_access:  read_only
        .address_space:  global
        .offset:         80
        .size:           8
        .value_kind:     global_buffer
      - .actual_access:  read_only
        .address_space:  global
        .offset:         88
        .size:           8
        .value_kind:     global_buffer
      - .actual_access:  write_only
        .address_space:  global
        .offset:         96
        .size:           8
        .value_kind:     global_buffer
    .group_segment_fixed_size: 0
    .kernarg_segment_align: 8
    .kernarg_segment_size: 104
    .language:       OpenCL C
    .language_version:
      - 2
      - 0
    .max_flat_workgroup_size: 204
    .name:           fft_rtc_back_len952_factors_17_4_2_7_wgs_204_tpt_68_halfLds_half_op_CI_CI_sbrr_dirReg
    .private_segment_fixed_size: 0
    .sgpr_count:     38
    .sgpr_spill_count: 0
    .symbol:         fft_rtc_back_len952_factors_17_4_2_7_wgs_204_tpt_68_halfLds_half_op_CI_CI_sbrr_dirReg.kd
    .uniform_work_group_size: 1
    .uses_dynamic_stack: false
    .vgpr_count:     111
    .vgpr_spill_count: 0
    .wavefront_size: 64
amdhsa.target:   amdgcn-amd-amdhsa--gfx906
amdhsa.version:
  - 1
  - 2
...

	.end_amdgpu_metadata
